;; amdgpu-corpus repo=ROCm/rocFFT kind=compiled arch=gfx906 opt=O3
	.text
	.amdgcn_target "amdgcn-amd-amdhsa--gfx906"
	.amdhsa_code_object_version 6
	.protected	bluestein_single_fwd_len455_dim1_half_op_CI_CI ; -- Begin function bluestein_single_fwd_len455_dim1_half_op_CI_CI
	.globl	bluestein_single_fwd_len455_dim1_half_op_CI_CI
	.p2align	8
	.type	bluestein_single_fwd_len455_dim1_half_op_CI_CI,@function
bluestein_single_fwd_len455_dim1_half_op_CI_CI: ; @bluestein_single_fwd_len455_dim1_half_op_CI_CI
; %bb.0:
	v_mul_u32_u24_e32 v1, 0x3f1, v0
	s_load_dwordx4 s[0:3], s[4:5], 0x28
	v_lshrrev_b32_e32 v1, 16, v1
	v_mad_u64_u32 v[12:13], s[6:7], s6, 3, v[1:2]
	v_mov_b32_e32 v13, 0
	s_waitcnt lgkmcnt(0)
	v_cmp_gt_u64_e32 vcc, s[0:1], v[12:13]
	s_and_saveexec_b64 s[0:1], vcc
	s_cbranch_execz .LBB0_23
; %bb.1:
	s_mov_b32 s0, 0xaaaaaaab
	v_mul_hi_u32 v2, v12, s0
	v_mul_lo_u16_e32 v1, 0x41, v1
	s_load_dwordx2 s[6:7], s[4:5], 0x0
	s_load_dwordx2 s[12:13], s[4:5], 0x38
	v_sub_u16_e32 v32, v0, v1
	v_lshrrev_b32_e32 v0, 1, v2
	v_lshl_add_u32 v0, v0, 1, v0
	v_sub_u32_e32 v0, v12, v0
	v_mul_u32_u24_e32 v21, 0x1c7, v0
	v_cmp_gt_u16_e32 vcc, 35, v32
	v_lshlrev_b32_e32 v31, 2, v32
	v_lshlrev_b32_e32 v33, 2, v21
	s_and_saveexec_b64 s[14:15], vcc
	s_cbranch_execz .LBB0_3
; %bb.2:
	s_load_dwordx2 s[0:1], s[4:5], 0x18
	s_waitcnt lgkmcnt(0)
	s_load_dwordx4 s[8:11], s[0:1], 0x0
	s_waitcnt lgkmcnt(0)
	v_mad_u64_u32 v[0:1], s[0:1], s10, v12, 0
	v_mad_u64_u32 v[2:3], s[0:1], s8, v32, 0
	;; [unrolled: 1-line block ×4, first 2 shown]
	v_mov_b32_e32 v1, v4
	v_lshlrev_b64 v[0:1], 2, v[0:1]
	v_mov_b32_e32 v3, v5
	v_mov_b32_e32 v6, s3
	v_lshlrev_b64 v[2:3], 2, v[2:3]
	v_add_co_u32_e64 v0, s[0:1], s2, v0
	v_addc_co_u32_e64 v1, s[0:1], v6, v1, s[0:1]
	v_add_co_u32_e64 v0, s[0:1], v0, v2
	v_addc_co_u32_e64 v1, s[0:1], v1, v3, s[0:1]
	s_mul_i32 s0, s9, 0x8c
	s_mul_hi_u32 s3, s8, 0x8c
	s_mul_i32 s2, s8, 0x8c
	s_add_i32 s3, s3, s0
	global_load_dword v2, v[0:1], off
	global_load_dword v3, v31, s[6:7]
	global_load_dword v4, v31, s[6:7] offset:140
	global_load_dword v5, v31, s[6:7] offset:280
	;; [unrolled: 1-line block ×3, first 2 shown]
	v_mov_b32_e32 v7, s3
	v_add_co_u32_e64 v0, s[0:1], s2, v0
	v_addc_co_u32_e64 v1, s[0:1], v1, v7, s[0:1]
	v_mov_b32_e32 v8, s3
	global_load_dword v7, v[0:1], off
	v_add_co_u32_e64 v0, s[0:1], s2, v0
	v_addc_co_u32_e64 v1, s[0:1], v1, v8, s[0:1]
	v_mov_b32_e32 v9, s3
	global_load_dword v8, v[0:1], off
	;; [unrolled: 4-line block ×3, first 2 shown]
	v_add_co_u32_e64 v0, s[0:1], s2, v0
	v_addc_co_u32_e64 v1, s[0:1], v1, v10, s[0:1]
	global_load_dword v10, v[0:1], off
	v_mov_b32_e32 v11, s3
	v_add_co_u32_e64 v0, s[0:1], s2, v0
	v_addc_co_u32_e64 v1, s[0:1], v1, v11, s[0:1]
	global_load_dword v11, v31, s[6:7] offset:560
	global_load_dword v13, v[0:1], off
	global_load_dword v14, v31, s[6:7] offset:700
	global_load_dword v15, v31, s[6:7] offset:840
	global_load_dword v16, v31, s[6:7] offset:980
	global_load_dword v17, v31, s[6:7] offset:1120
	global_load_dword v18, v31, s[6:7] offset:1260
	global_load_dword v19, v31, s[6:7] offset:1400
	v_mov_b32_e32 v20, s3
	v_add_co_u32_e64 v0, s[0:1], s2, v0
	v_addc_co_u32_e64 v1, s[0:1], v1, v20, s[0:1]
	global_load_dword v20, v[0:1], off
	v_mov_b32_e32 v22, s3
	v_add_co_u32_e64 v0, s[0:1], s2, v0
	v_addc_co_u32_e64 v1, s[0:1], v1, v22, s[0:1]
	global_load_dword v22, v[0:1], off
	;; [unrolled: 4-line block ×6, first 2 shown]
	global_load_dword v30, v31, s[6:7] offset:1540
	v_add_co_u32_e64 v0, s[0:1], s2, v0
	v_addc_co_u32_e64 v1, s[0:1], v1, v26, s[0:1]
	global_load_dword v26, v[0:1], off
	global_load_dword v34, v31, s[6:7] offset:1680
	s_waitcnt vmcnt(25)
	v_lshrrev_b32_e32 v27, 16, v2
	s_waitcnt vmcnt(24)
	v_mul_f16_sdwa v28, v3, v2 dst_sel:DWORD dst_unused:UNUSED_PAD src0_sel:WORD_1 src1_sel:DWORD
	v_fma_f16 v28, v3, v27, -v28
	v_mul_f16_sdwa v27, v3, v27 dst_sel:DWORD dst_unused:UNUSED_PAD src0_sel:WORD_1 src1_sel:DWORD
	v_fma_f16 v0, v3, v2, v27
	v_pack_b32_f16 v0, v0, v28
	v_lshl_add_u32 v3, v32, 2, v33
	ds_write_b32 v3, v0
	s_waitcnt vmcnt(20)
	v_lshrrev_b32_e32 v1, 16, v7
	v_mul_f16_sdwa v2, v4, v7 dst_sel:DWORD dst_unused:UNUSED_PAD src0_sel:WORD_1 src1_sel:DWORD
	v_fma_f16 v2, v4, v1, -v2
	v_mul_f16_sdwa v1, v4, v1 dst_sel:DWORD dst_unused:UNUSED_PAD src0_sel:WORD_1 src1_sel:DWORD
	v_fma_f16 v1, v4, v7, v1
	v_pack_b32_f16 v1, v1, v2
	s_waitcnt vmcnt(19)
	v_lshrrev_b32_e32 v0, 16, v8
	v_mul_f16_sdwa v3, v5, v8 dst_sel:DWORD dst_unused:UNUSED_PAD src0_sel:WORD_1 src1_sel:DWORD
	v_fma_f16 v3, v5, v0, -v3
	v_mul_f16_sdwa v0, v5, v0 dst_sel:DWORD dst_unused:UNUSED_PAD src0_sel:WORD_1 src1_sel:DWORD
	v_fma_f16 v0, v5, v8, v0
	v_add_u32_e32 v2, v33, v31
	s_waitcnt vmcnt(18)
	v_lshrrev_b32_e32 v4, 16, v9
	v_mul_f16_sdwa v5, v6, v9 dst_sel:DWORD dst_unused:UNUSED_PAD src0_sel:WORD_1 src1_sel:DWORD
	v_pack_b32_f16 v0, v0, v3
	v_fma_f16 v5, v6, v4, -v5
	v_mul_f16_sdwa v4, v6, v4 dst_sel:DWORD dst_unused:UNUSED_PAD src0_sel:WORD_1 src1_sel:DWORD
	s_waitcnt vmcnt(17)
	v_lshrrev_b32_e32 v3, 16, v10
	ds_write2_b32 v2, v1, v0 offset0:35 offset1:70
	s_waitcnt vmcnt(16)
	v_mul_f16_sdwa v0, v11, v10 dst_sel:DWORD dst_unused:UNUSED_PAD src0_sel:WORD_1 src1_sel:DWORD
	v_mul_f16_sdwa v1, v11, v3 dst_sel:DWORD dst_unused:UNUSED_PAD src0_sel:WORD_1 src1_sel:DWORD
	v_fma_f16 v4, v6, v9, v4
	v_fma_f16 v0, v11, v3, -v0
	s_waitcnt vmcnt(15)
	v_lshrrev_b32_e32 v3, 16, v13
	v_fma_f16 v1, v11, v10, v1
	v_pack_b32_f16 v4, v4, v5
	s_waitcnt vmcnt(14)
	v_mul_f16_sdwa v5, v14, v13 dst_sel:DWORD dst_unused:UNUSED_PAD src0_sel:WORD_1 src1_sel:DWORD
	v_mul_f16_sdwa v6, v14, v3 dst_sel:DWORD dst_unused:UNUSED_PAD src0_sel:WORD_1 src1_sel:DWORD
	v_pack_b32_f16 v0, v1, v0
	v_fma_f16 v1, v14, v13, v6
	ds_write2_b32 v2, v4, v0 offset0:105 offset1:140
	v_fma_f16 v0, v14, v3, -v5
	v_pack_b32_f16 v0, v1, v0
	s_waitcnt vmcnt(8)
	v_lshrrev_b32_e32 v1, 16, v20
	v_mul_f16_sdwa v3, v15, v1 dst_sel:DWORD dst_unused:UNUSED_PAD src0_sel:WORD_1 src1_sel:DWORD
	v_mul_f16_sdwa v4, v15, v20 dst_sel:DWORD dst_unused:UNUSED_PAD src0_sel:WORD_1 src1_sel:DWORD
	v_fma_f16 v3, v15, v20, v3
	v_fma_f16 v1, v15, v1, -v4
	v_pack_b32_f16 v1, v3, v1
	ds_write2_b32 v2, v0, v1 offset0:175 offset1:210
	s_waitcnt vmcnt(7)
	v_lshrrev_b32_e32 v0, 16, v22
	v_mul_f16_sdwa v1, v16, v0 dst_sel:DWORD dst_unused:UNUSED_PAD src0_sel:WORD_1 src1_sel:DWORD
	v_mul_f16_sdwa v3, v16, v22 dst_sel:DWORD dst_unused:UNUSED_PAD src0_sel:WORD_1 src1_sel:DWORD
	v_fma_f16 v1, v16, v22, v1
	v_fma_f16 v0, v16, v0, -v3
	v_pack_b32_f16 v0, v1, v0
	s_waitcnt vmcnt(6)
	v_lshrrev_b32_e32 v1, 16, v23
	v_mul_f16_sdwa v3, v17, v1 dst_sel:DWORD dst_unused:UNUSED_PAD src0_sel:WORD_1 src1_sel:DWORD
	v_mul_f16_sdwa v4, v17, v23 dst_sel:DWORD dst_unused:UNUSED_PAD src0_sel:WORD_1 src1_sel:DWORD
	v_fma_f16 v3, v17, v23, v3
	v_fma_f16 v1, v17, v1, -v4
	v_pack_b32_f16 v1, v3, v1
	v_add_u32_e32 v3, 0x200, v2
	ds_write2_b32 v3, v0, v1 offset0:117 offset1:152
	s_waitcnt vmcnt(5)
	v_lshrrev_b32_e32 v0, 16, v24
	v_mul_f16_sdwa v1, v18, v0 dst_sel:DWORD dst_unused:UNUSED_PAD src0_sel:WORD_1 src1_sel:DWORD
	v_mul_f16_sdwa v3, v18, v24 dst_sel:DWORD dst_unused:UNUSED_PAD src0_sel:WORD_1 src1_sel:DWORD
	v_fma_f16 v1, v18, v24, v1
	v_fma_f16 v0, v18, v0, -v3
	v_pack_b32_f16 v0, v1, v0
	s_waitcnt vmcnt(4)
	v_lshrrev_b32_e32 v1, 16, v25
	v_mul_f16_sdwa v3, v19, v1 dst_sel:DWORD dst_unused:UNUSED_PAD src0_sel:WORD_1 src1_sel:DWORD
	v_mul_f16_sdwa v4, v19, v25 dst_sel:DWORD dst_unused:UNUSED_PAD src0_sel:WORD_1 src1_sel:DWORD
	v_fma_f16 v3, v19, v25, v3
	v_fma_f16 v1, v19, v1, -v4
	v_pack_b32_f16 v1, v3, v1
	v_add_u32_e32 v2, 0x400, v2
	ds_write2_b32 v2, v0, v1 offset0:59 offset1:94
	s_waitcnt vmcnt(3)
	v_lshrrev_b32_e32 v0, 16, v29
	s_waitcnt vmcnt(2)
	v_mul_f16_sdwa v1, v30, v0 dst_sel:DWORD dst_unused:UNUSED_PAD src0_sel:WORD_1 src1_sel:DWORD
	v_mul_f16_sdwa v3, v30, v29 dst_sel:DWORD dst_unused:UNUSED_PAD src0_sel:WORD_1 src1_sel:DWORD
	v_fma_f16 v1, v30, v29, v1
	v_fma_f16 v0, v30, v0, -v3
	v_pack_b32_f16 v0, v1, v0
	s_waitcnt vmcnt(1)
	v_lshrrev_b32_e32 v1, 16, v26
	s_waitcnt vmcnt(0)
	v_mul_f16_sdwa v3, v34, v1 dst_sel:DWORD dst_unused:UNUSED_PAD src0_sel:WORD_1 src1_sel:DWORD
	v_mul_f16_sdwa v4, v34, v26 dst_sel:DWORD dst_unused:UNUSED_PAD src0_sel:WORD_1 src1_sel:DWORD
	v_fma_f16 v3, v34, v26, v3
	v_fma_f16 v1, v34, v1, -v4
	v_pack_b32_f16 v1, v3, v1
	ds_write2_b32 v2, v0, v1 offset0:129 offset1:164
.LBB0_3:
	s_or_b64 exec, exec, s[14:15]
	v_mov_b32_e32 v0, 0
	s_waitcnt lgkmcnt(0)
	s_barrier
	s_waitcnt lgkmcnt(0)
                                        ; implicit-def: $vgpr3
                                        ; implicit-def: $vgpr6
                                        ; implicit-def: $vgpr5
                                        ; implicit-def: $vgpr10
                                        ; implicit-def: $vgpr9
                                        ; implicit-def: $vgpr15
	s_and_saveexec_b64 s[0:1], vcc
	s_cbranch_execz .LBB0_5
; %bb.4:
	v_lshl_add_u32 v13, v21, 2, v31
	ds_read2_b32 v[0:1], v13 offset1:35
	ds_read2_b32 v[8:9], v13 offset0:70 offset1:105
	ds_read2_b32 v[4:5], v13 offset0:140 offset1:175
	;; [unrolled: 1-line block ×3, first 2 shown]
	v_add_u32_e32 v10, 0x400, v13
	ds_read2_b32 v[6:7], v10 offset0:24 offset1:59
	ds_read2_b32 v[10:11], v10 offset0:94 offset1:129
	ds_read_b32 v15, v13 offset:1680
.LBB0_5:
	s_or_b64 exec, exec, s[0:1]
	s_waitcnt lgkmcnt(0)
	v_pk_add_f16 v16, v1, v15 neg_lo:[0,1] neg_hi:[0,1]
	s_mov_b32 s0, 0xb770
	v_pk_add_f16 v19, v15, v1
	s_movk_i32 s1, 0x3b15
	v_mul_f16_sdwa v18, v16, s0 dst_sel:DWORD dst_unused:UNUSED_PAD src0_sel:WORD_1 src1_sel:DWORD
	s_mov_b32 s2, 0xba95
	v_pk_add_f16 v17, v8, v11 neg_lo:[0,1] neg_hi:[0,1]
	v_fma_f16 v13, v19, s1, v18
	s_movk_i32 s0, 0x388b
	v_pk_add_f16 v23, v11, v8
	v_mul_f16_sdwa v24, v17, s2 dst_sel:DWORD dst_unused:UNUSED_PAD src0_sel:WORD_1 src1_sel:DWORD
	v_add_f16_e32 v13, v13, v0
	v_fma_f16 v14, v23, s0, v24
	s_mov_b32 s11, 0xbb7b
	v_mul_f16_sdwa v26, v16, s2 dst_sel:DWORD dst_unused:UNUSED_PAD src0_sel:WORD_1 src1_sel:DWORD
	v_add_f16_e32 v13, v14, v13
	s_mov_b32 s10, 0xb5ac
	v_fma_f16 v14, v19, s0, v26
	v_mul_f16_sdwa v27, v17, s11 dst_sel:DWORD dst_unused:UNUSED_PAD src0_sel:WORD_1 src1_sel:DWORD
	v_add_f16_e32 v14, v14, v0
	v_fma_f16 v20, v23, s10, v27
	v_add_f16_e32 v14, v20, v14
	s_mov_b32 s9, 0xbbf1
	v_pk_add_f16 v20, v9, v10 neg_lo:[0,1] neg_hi:[0,1]
	s_movk_i32 s3, 0x2fb7
	v_pk_add_f16 v47, v10, v9
	v_mul_f16_sdwa v25, v20, s9 dst_sel:DWORD dst_unused:UNUSED_PAD src0_sel:WORD_1 src1_sel:DWORD
	s_mov_b32 s16, 0xb3a8
	v_fma_f16 v22, v47, s3, v25
	s_mov_b32 s8, 0xbbc4
	v_mul_f16_sdwa v29, v20, s16 dst_sel:DWORD dst_unused:UNUSED_PAD src0_sel:WORD_1 src1_sel:DWORD
	v_add_f16_e32 v13, v22, v13
	v_fma_f16 v22, v47, s8, v29
	v_add_f16_e32 v14, v22, v14
	v_pk_add_f16 v22, v4, v7 neg_lo:[0,1] neg_hi:[0,1]
	v_pk_add_f16 v50, v7, v4
	v_mul_f16_sdwa v28, v22, s11 dst_sel:DWORD dst_unused:UNUSED_PAD src0_sel:WORD_1 src1_sel:DWORD
	s_movk_i32 s17, 0x394e
	v_fma_f16 v30, v50, s10, v28
	s_mov_b32 s14, 0xb9fd
	v_mul_f16_sdwa v34, v22, s17 dst_sel:DWORD dst_unused:UNUSED_PAD src0_sel:WORD_1 src1_sel:DWORD
	v_add_f16_e32 v13, v30, v13
	v_fma_f16 v30, v50, s14, v34
	s_mov_b32 s15, 0xb94e
	v_pk_add_f16 v36, v5, v6 neg_lo:[0,1] neg_hi:[0,1]
	v_add_f16_e32 v14, v30, v14
	v_pk_add_f16 v54, v6, v5
	v_mul_f16_sdwa v30, v36, s15 dst_sel:DWORD dst_unused:UNUSED_PAD src0_sel:WORD_1 src1_sel:DWORD
	s_movk_i32 s18, 0x3bf1
	v_fma_f16 v35, v54, s14, v30
	v_mul_f16_sdwa v37, v36, s18 dst_sel:DWORD dst_unused:UNUSED_PAD src0_sel:WORD_1 src1_sel:DWORD
	v_add_f16_e32 v13, v35, v13
	v_fma_f16 v35, v54, s3, v37
	v_pk_add_f16 v98, v2, v3 neg_lo:[0,1] neg_hi:[0,1]
	v_add_f16_e32 v39, v35, v14
	s_movk_i32 s19, 0x3770
	v_pk_add_f16 v53, v3, v2
	v_mul_f16_sdwa v35, v98, s16 dst_sel:DWORD dst_unused:UNUSED_PAD src0_sel:WORD_1 src1_sel:DWORD
	v_fma_f16 v14, v53, s8, v35
	v_mul_f16_sdwa v38, v98, s19 dst_sel:DWORD dst_unused:UNUSED_PAD src0_sel:WORD_1 src1_sel:DWORD
	v_add_f16_e32 v14, v14, v13
	v_fma_f16 v13, v53, s1, v38
	v_lshrrev_b32_e32 v67, 16, v19
	v_mul_f16_e32 v45, 0xb770, v16
	v_add_f16_e32 v13, v13, v39
	v_fma_f16 v39, v67, s1, -v45
	v_lshrrev_b32_e32 v65, 16, v23
	v_mul_f16_e32 v46, 0xba95, v17
	v_add_f16_sdwa v39, v39, v0 dst_sel:DWORD dst_unused:UNUSED_PAD src0_sel:DWORD src1_sel:WORD_1
	v_fma_f16 v40, v65, s0, -v46
	v_mul_f16_e32 v51, 0xba95, v16
	v_add_f16_e32 v39, v40, v39
	v_fma_f16 v40, v67, s0, -v51
	v_mul_f16_e32 v52, 0xbb7b, v17
	v_add_f16_sdwa v40, v40, v0 dst_sel:DWORD dst_unused:UNUSED_PAD src0_sel:DWORD src1_sel:WORD_1
	v_fma_f16 v41, v65, s10, -v52
	v_mul_f16_sdwa v55, v16, s9 dst_sel:DWORD dst_unused:UNUSED_PAD src0_sel:WORD_1 src1_sel:DWORD
	v_add_f16_e32 v40, v41, v40
	v_fma_f16 v41, v19, s3, v55
	v_mul_f16_sdwa v56, v17, s16 dst_sel:DWORD dst_unused:UNUSED_PAD src0_sel:WORD_1 src1_sel:DWORD
	v_add_f16_e32 v41, v41, v0
	v_fma_f16 v42, v23, s8, v56
	v_mul_f16_e32 v58, 0xbbf1, v16
	v_add_f16_e32 v41, v42, v41
	v_fma_f16 v42, v67, s3, -v58
	v_mul_f16_e32 v59, 0xb3a8, v17
	v_add_f16_sdwa v42, v42, v0 dst_sel:DWORD dst_unused:UNUSED_PAD src0_sel:DWORD src1_sel:WORD_1
	v_fma_f16 v43, v65, s8, -v59
	v_mul_f16_sdwa v63, v16, s11 dst_sel:DWORD dst_unused:UNUSED_PAD src0_sel:WORD_1 src1_sel:DWORD
	v_add_f16_e32 v42, v43, v42
	v_fma_f16 v43, v19, s10, v63
	v_mul_f16_sdwa v62, v17, s17 dst_sel:DWORD dst_unused:UNUSED_PAD src0_sel:WORD_1 src1_sel:DWORD
	v_add_f16_e32 v43, v43, v0
	v_fma_f16 v44, v23, s14, v62
	v_add_f16_e32 v43, v44, v43
	v_mul_f16_sdwa v44, v16, s15 dst_sel:DWORD dst_unused:UNUSED_PAD src0_sel:WORD_1 src1_sel:DWORD
	v_fma_f16 v48, v19, s14, -v44
	v_mul_f16_sdwa v49, v17, s18 dst_sel:DWORD dst_unused:UNUSED_PAD src0_sel:WORD_1 src1_sel:DWORD
	v_add_f16_e32 v48, v48, v0
	v_fma_f16 v57, v23, s3, -v49
	v_fma_f16 v44, v19, s14, v44
	v_add_f16_e32 v48, v57, v48
	v_mul_f16_e32 v57, 0xb94e, v16
	v_fma_f16 v49, v23, s3, v49
	v_add_f16_e32 v44, v44, v0
	v_mul_f16_e32 v61, 0x3bf1, v17
	v_add_f16_e32 v44, v49, v44
	v_fma_f16 v49, v67, s14, -v57
	s_mov_b32 s17, 0xb3a8bb7b
	v_fma_f16 v60, v67, s14, v57
	v_fma_f16 v57, v65, s3, -v61
	v_add_f16_sdwa v49, v49, v0 dst_sel:DWORD dst_unused:UNUSED_PAD src0_sel:DWORD src1_sel:WORD_1
	s_mov_b32 s16, 0xb5acbbc4
	v_pk_mul_f16 v71, v16, s17
	s_mov_b32 s17, 0x3770394e
	v_add_f16_sdwa v60, v60, v0 dst_sel:DWORD dst_unused:UNUSED_PAD src0_sel:DWORD src1_sel:WORD_1
	v_fma_f16 v64, v65, s3, v61
	v_add_f16_e32 v49, v57, v49
	v_pk_fma_f16 v57, v19, s16, v71 op_sel:[0,0,1] op_sel_hi:[1,1,0] neg_lo:[0,0,1] neg_hi:[0,0,1]
	s_mov_b32 s18, 0xb9fd3b15
	v_pk_mul_f16 v69, v17, s17
	v_add_f16_e32 v68, v64, v60
	v_pk_add_f16 v57, v57, v0
	v_pk_fma_f16 v60, v23, s18, v69 op_sel:[0,0,1] op_sel_hi:[1,1,0] neg_lo:[0,0,1] neg_hi:[0,0,1]
	v_mul_f16_e32 v16, 0xb3a8, v16
	v_pk_add_f16 v61, v60, v57
	v_mul_f16_e32 v17, 0x3770, v17
	v_fma_f16 v57, v67, s8, -v16
	v_add_f16_sdwa v57, v57, v0 dst_sel:DWORD dst_unused:UNUSED_PAD src0_sel:DWORD src1_sel:WORD_1
	v_fma_f16 v60, v65, s1, -v17
	v_add_f16_e32 v70, v60, v57
	v_lshrrev_b32_e32 v81, 16, v47
	v_mul_f16_e32 v57, 0xbbf1, v20
	v_fma_f16 v60, v81, s3, -v57
	v_add_f16_e32 v39, v60, v39
	v_mul_f16_e32 v60, 0xb3a8, v20
	v_fma_f16 v64, v81, s8, -v60
	s_movk_i32 s17, 0x3b7b
	v_add_f16_e32 v40, v64, v40
	v_mul_f16_sdwa v64, v20, s17 dst_sel:DWORD dst_unused:UNUSED_PAD src0_sel:WORD_1 src1_sel:DWORD
	v_fma_f16 v66, v47, s10, v64
	v_add_f16_e32 v41, v66, v41
	v_mul_f16_e32 v66, 0x3b7b, v20
	v_fma_f16 v72, v81, s10, -v66
	v_mul_f16_sdwa v74, v20, s19 dst_sel:DWORD dst_unused:UNUSED_PAD src0_sel:WORD_1 src1_sel:DWORD
	v_add_f16_e32 v42, v72, v42
	v_fma_f16 v72, v47, s1, v74
	v_add_f16_e32 v43, v72, v43
	v_mul_f16_sdwa v72, v20, s2 dst_sel:DWORD dst_unused:UNUSED_PAD src0_sel:WORD_1 src1_sel:DWORD
	v_fma_f16 v73, v47, s0, -v72
	v_add_f16_e32 v48, v73, v48
	v_mul_f16_e32 v73, 0xba95, v20
	v_fma_f16 v75, v81, s0, v73
	v_add_f16_e32 v76, v75, v68
	v_fma_f16 v68, v47, s0, v72
	s_mov_b32 s17, 0xb94e3770
	v_add_f16_e32 v44, v68, v44
	v_fma_f16 v68, v81, s0, -v73
	s_mov_b32 s20, 0x3b15b9fd
	v_pk_mul_f16 v78, v20, s17
	v_add_f16_e32 v49, v68, v49
	v_pk_fma_f16 v68, v47, s20, v78 op_sel:[0,0,1] op_sel_hi:[1,1,0] neg_lo:[0,0,1] neg_hi:[0,0,1]
	v_mul_f16_e32 v20, 0xb94e, v20
	v_pk_add_f16 v72, v68, v61
	v_fma_f16 v61, v81, s14, -v20
	v_add_f16_e32 v70, v61, v70
	v_lshrrev_b32_e32 v87, 16, v50
	v_mul_f16_e32 v61, 0xbb7b, v22
	v_fma_f16 v68, v87, s10, -v61
	v_add_f16_e32 v39, v68, v39
	v_mul_f16_e32 v68, 0x394e, v22
	v_fma_f16 v73, v87, s14, -v68
	v_add_f16_e32 v40, v73, v40
	v_mul_f16_sdwa v73, v22, s19 dst_sel:DWORD dst_unused:UNUSED_PAD src0_sel:WORD_1 src1_sel:DWORD
	v_fma_f16 v75, v50, s1, v73
	v_add_f16_e32 v41, v75, v41
	v_mul_f16_e32 v75, 0x3770, v22
	v_fma_f16 v77, v87, s1, -v75
	v_mul_f16_sdwa v79, v22, s9 dst_sel:DWORD dst_unused:UNUSED_PAD src0_sel:WORD_1 src1_sel:DWORD
	v_add_f16_e32 v42, v77, v42
	v_fma_f16 v77, v50, s3, v79
	s_movk_i32 s9, 0x33a8
	v_add_f16_e32 v43, v77, v43
	v_mul_f16_sdwa v77, v22, s9 dst_sel:DWORD dst_unused:UNUSED_PAD src0_sel:WORD_1 src1_sel:DWORD
	v_fma_f16 v80, v50, s8, -v77
	v_add_f16_e32 v48, v80, v48
	v_mul_f16_e32 v80, 0x33a8, v22
	v_fma_f16 v82, v87, s8, v80
	v_add_f16_e32 v83, v82, v76
	v_fma_f16 v76, v50, s8, v77
	s_mov_b32 s17, 0x3a95bbf1
	v_mul_f16_e32 v84, 0x3a95, v22
	v_add_f16_e32 v44, v76, v44
	v_fma_f16 v76, v87, s8, -v80
	s_mov_b32 s21, 0x2fb7388b
	v_pk_mul_f16 v85, v22, s17
	v_fma_f16 v22, v87, s0, -v84
	v_add_f16_e32 v49, v76, v49
	v_pk_fma_f16 v76, v50, s21, v85 op_sel:[0,0,1] op_sel_hi:[1,1,0] neg_lo:[0,0,1] neg_hi:[0,0,1]
	v_add_f16_e32 v22, v22, v70
	v_lshrrev_b32_e32 v90, 16, v54
	v_mul_f16_e32 v70, 0xb94e, v36
	v_pk_add_f16 v72, v76, v72
	v_fma_f16 v76, v90, s14, -v70
	v_add_f16_e32 v39, v76, v39
	v_mul_f16_e32 v76, 0x3bf1, v36
	v_fma_f16 v77, v90, s3, -v76
	v_mul_f16_sdwa v80, v36, s2 dst_sel:DWORD dst_unused:UNUSED_PAD src0_sel:WORD_1 src1_sel:DWORD
	v_add_f16_e32 v40, v77, v40
	v_fma_f16 v77, v54, s0, v80
	v_mul_f16_e32 v82, 0xba95, v36
	v_add_f16_e32 v99, v77, v41
	v_fma_f16 v41, v90, s0, -v82
	v_mul_f16_sdwa v86, v36, s9 dst_sel:DWORD dst_unused:UNUSED_PAD src0_sel:WORD_1 src1_sel:DWORD
	v_add_f16_e32 v41, v41, v42
	v_fma_f16 v42, v54, s8, v86
	v_add_f16_e32 v42, v42, v43
	v_mul_f16_sdwa v43, v36, s19 dst_sel:DWORD dst_unused:UNUSED_PAD src0_sel:WORD_1 src1_sel:DWORD
	v_fma_f16 v77, v54, s1, -v43
	v_add_f16_e32 v100, v77, v48
	v_mul_f16_e32 v48, 0x3770, v36
	s_mov_b32 s9, 0xbb7b33a8
	v_fma_f16 v77, v90, s1, v48
	v_fma_f16 v43, v54, s1, v43
	v_pk_mul_f16 v89, v36, s9
	v_mul_f16_e32 v36, 0xbb7b, v36
	v_add_f16_e32 v92, v77, v83
	v_add_f16_e32 v101, v43, v44
	v_fma_f16 v43, v90, s1, -v48
	v_fma_f16 v48, v90, s10, -v36
	v_lshrrev_b32_e32 v91, 16, v53
	v_mul_f16_e32 v77, 0xb3a8, v98
	v_add_f16_e32 v43, v43, v49
	s_mov_b32 s2, 0xbbc4b5ac
	v_add_f16_e32 v49, v48, v22
	v_fma_f16 v22, v91, s8, -v77
	v_mul_f16_e32 v83, 0x3770, v98
	v_pk_fma_f16 v44, v54, s2, v89 op_sel:[0,0,1] op_sel_hi:[1,1,0] neg_lo:[0,0,1] neg_hi:[0,0,1]
	v_add_f16_e32 v39, v22, v39
	v_fma_f16 v22, v91, s1, -v83
	v_mul_f16_e32 v88, 0xb94e, v98
	s_movk_i32 s1, 0x3a95
	v_pk_add_f16 v44, v44, v72
	v_add_f16_e32 v40, v22, v40
	v_fma_f16 v22, v91, s14, -v88
	v_mul_f16_sdwa v72, v98, s1 dst_sel:DWORD dst_unused:UNUSED_PAD src0_sel:WORD_1 src1_sel:DWORD
	v_add_f16_e32 v41, v22, v41
	v_fma_f16 v22, v53, s0, v72
	v_mul_f16_e32 v48, 0xbb7b, v98
	v_add_f16_e32 v42, v22, v42
	v_fma_f16 v22, v91, s10, v48
	s_mov_b32 s1, 0x3bf13a95
	v_add_f16_e32 v22, v22, v92
	v_fma_f16 v48, v91, s10, -v48
	s_mov_b32 s0, 0x388b2fb7
	v_pk_mul_f16 v92, v98, s1
	v_add_f16_e32 v43, v48, v43
	v_pk_fma_f16 v48, v53, s0, v92 op_sel:[0,0,1] op_sel_hi:[1,1,0] neg_lo:[0,0,1] neg_hi:[0,0,1]
	v_pk_add_f16 v44, v48, v44
	v_pk_fma_f16 v48, v19, s16, v71 op_sel:[0,0,1] op_sel_hi:[1,1,0]
	v_pack_b32_f16 v17, v17, v48
	s_mov_b32 s17, 0x5040100
	v_mul_f16_e32 v48, 0x3b15, v65
	v_perm_b32 v48, v0, v48, s17
	v_fma_f16 v16, v67, s8, v16
	v_pk_mul_f16 v93, v23, s18
	s_mov_b32 s1, 0x7060302
	v_pk_add_f16 v17, v17, v48
	v_pack_b32_f16 v16, v16, v93
	v_perm_b32 v48, v69, v0, s1
	v_pk_add_f16 v16, v16, v48
	v_pk_mul_f16 v95, v47, s20
	v_pk_add_f16 v16, v16, v17
	v_pack_b32_f16 v17, v20, v95
	s_mov_b32 s18, 0xffff
	v_mul_f16_e32 v20, 0xb9fd, v81
	v_bfi_b32 v20, s18, v20, v78
	v_pk_add_f16 v17, v17, v20
	v_pk_mul_f16 v96, v50, s21
	v_mul_f16_e32 v20, 0x388b, v87
	v_pk_add_f16 v16, v17, v16
	v_pack_b32_f16 v17, v84, v96
	v_bfi_b32 v20, s18, v20, v85
	v_pk_add_f16 v17, v17, v20
	v_pk_mul_f16 v97, v54, s2
	v_mul_f16_e32 v20, 0xb5ac, v90
	v_pk_add_f16 v16, v17, v16
	v_pack_b32_f16 v17, v36, v97
	v_bfi_b32 v20, s18, v20, v89
	v_pk_add_f16 v17, v17, v20
	v_pk_add_f16 v16, v17, v16
	v_mul_f16_e32 v17, 0x2fb7, v91
	v_pk_mul_f16 v84, v53, s0
	v_mul_f16_e32 v20, 0x3bf1, v98
	v_bfi_b32 v17, s18, v17, v92
	v_pack_b32_f16 v36, v20, v84
	v_pk_add_f16 v17, v36, v17
	v_pk_add_f16 v48, v17, v16
	v_fma_f16 v16, v91, s3, -v20
	s_load_dwordx2 s[8:9], s[4:5], 0x20
	s_load_dwordx2 s[2:3], s[4:5], 0x8
	v_add_f16_e32 v49, v16, v49
	v_mul_f16_sdwa v94, v98, s15 dst_sel:DWORD dst_unused:UNUSED_PAD src0_sel:WORD_1 src1_sel:DWORD
	v_mul_f16_sdwa v16, v98, s11 dst_sel:DWORD dst_unused:UNUSED_PAD src0_sel:WORD_1 src1_sel:DWORD
	v_fma_f16 v17, v53, s10, -v16
	v_fma_f16 v20, v53, s10, v16
	v_fma_f16 v16, v53, s14, v94
	v_add_f16_e32 v16, v16, v99
	v_add_f16_e32 v17, v17, v100
	;; [unrolled: 1-line block ×3, first 2 shown]
	v_mul_lo_u16_e32 v36, 13, v32
	s_waitcnt lgkmcnt(0)
	s_barrier
	s_and_saveexec_b64 s[0:1], vcc
	s_cbranch_execz .LBB0_7
; %bb.6:
	v_mul_f16_e32 v100, 0x388b, v19
	v_mul_f16_e32 v106, 0xb5ac, v23
	v_sub_f16_e32 v26, v100, v26
	v_mul_f16_e32 v111, 0xbbc4, v47
	v_add_f16_e32 v26, v26, v0
	v_sub_f16_e32 v27, v106, v27
	v_mul_f16_e32 v116, 0xb9fd, v50
	v_add_f16_e32 v26, v27, v26
	v_sub_f16_e32 v27, v111, v29
	v_pk_add_f16 v1, v1, v0
	v_mul_f16_e32 v98, 0x3b15, v19
	v_mul_f16_e32 v102, 0x2fb7, v19
	;; [unrolled: 1-line block ×4, first 2 shown]
	v_pk_mul_f16 v19, v19, s16
	v_alignbit_b32 v71, v71, v71, 16
	v_add_f16_e32 v26, v27, v26
	v_sub_f16_e32 v27, v116, v34
	v_pk_add_f16 v1, v8, v1
	v_bfi_b32 v63, s18, v63, v19
	v_pk_add_f16 v19, v71, v19
	v_mul_f16_e32 v71, 0x3b15, v53
	v_add_f16_e32 v26, v27, v26
	v_sub_f16_e32 v27, v121, v37
	v_pk_add_f16 v1, v9, v1
	v_mul_f16_e32 v99, 0x3b15, v67
	v_add_f16_e32 v26, v27, v26
	v_sub_f16_e32 v27, v71, v38
	v_pk_add_f16 v1, v4, v1
	v_mul_f16_e32 v101, 0x388b, v67
	v_mul_f16_e32 v67, 0x2fb7, v67
	;; [unrolled: 1-line block ×4, first 2 shown]
	v_add_f16_e32 v26, v27, v26
	v_add_f16_e32 v27, v45, v99
	v_sub_f16_e32 v18, v98, v18
	v_pk_add_f16 v1, v5, v1
	v_mul_f16_e32 v107, 0xb5ac, v65
	v_mul_f16_e32 v108, 0xbbc4, v23
	;; [unrolled: 1-line block ×5, first 2 shown]
	v_add_f16_e32 v58, v58, v67
	v_sub_f16_e32 v55, v102, v55
	v_add_f16_e32 v51, v51, v101
	v_add_f16_sdwa v27, v27, v0 dst_sel:DWORD dst_unused:UNUSED_PAD src0_sel:DWORD src1_sel:WORD_1
	v_add_f16_e32 v29, v46, v105
	v_add_f16_e32 v18, v18, v0
	v_sub_f16_e32 v24, v104, v24
	v_pk_add_f16 v1, v2, v1
	v_mul_f16_e32 v23, 0xb9fd, v23
	v_mul_f16_e32 v112, 0xbbc4, v81
	;; [unrolled: 1-line block ×6, first 2 shown]
	v_bfi_b32 v62, s18, v62, v93
	v_alignbit_b32 v69, v69, v69, 16
	v_add_f16_sdwa v58, v58, v0 dst_sel:DWORD dst_unused:UNUSED_PAD src0_sel:DWORD src1_sel:WORD_1
	v_add_f16_e32 v59, v59, v65
	v_add_f16_e32 v55, v55, v0
	v_sub_f16_e32 v56, v108, v56
	v_add_f16_sdwa v51, v51, v0 dst_sel:DWORD dst_unused:UNUSED_PAD src0_sel:DWORD src1_sel:WORD_1
	v_add_f16_e32 v52, v52, v107
	v_add_f16_e32 v27, v29, v27
	v_add_f16_e32 v29, v57, v110
	v_add_f16_e32 v18, v24, v18
	v_sub_f16_e32 v24, v109, v25
	v_pk_add_f16 v1, v3, v1
	v_mul_f16_e32 v117, 0xb9fd, v87
	v_mul_f16_e32 v118, 0x3b15, v50
	;; [unrolled: 1-line block ×5, first 2 shown]
	v_pk_add_f16 v23, v23, v62 neg_lo:[0,1] neg_hi:[0,1]
	v_pk_add_f16 v69, v69, v93
	v_add_f16_e32 v58, v59, v58
	v_add_f16_e32 v59, v66, v81
	;; [unrolled: 1-line block ×3, first 2 shown]
	v_sub_f16_e32 v56, v113, v64
	v_add_f16_e32 v51, v52, v51
	v_add_f16_e32 v52, v60, v112
	;; [unrolled: 1-line block ×5, first 2 shown]
	v_sub_f16_e32 v24, v114, v28
	v_pk_add_f16 v1, v6, v1
	v_mul_f16_e32 v47, 0x3b15, v47
	v_mul_f16_e32 v122, 0x2fb7, v90
	;; [unrolled: 1-line block ×5, first 2 shown]
	v_pk_add_f16 v63, v103, v63 neg_lo:[0,1] neg_hi:[0,1]
	v_mul_f16_e32 v103, 0xbbc4, v91
	v_alignbit_b32 v78, v78, v78, 16
	v_bfi_b32 v23, s18, v23, v69
	v_bfi_b32 v69, s18, v74, v95
	v_add_f16_e32 v58, v59, v58
	v_add_f16_e32 v59, v75, v87
	;; [unrolled: 1-line block ×3, first 2 shown]
	v_sub_f16_e32 v56, v118, v73
	v_add_f16_e32 v51, v52, v51
	v_add_f16_e32 v52, v68, v117
	;; [unrolled: 1-line block ×5, first 2 shown]
	v_sub_f16_e32 v24, v119, v30
	v_pk_add_f16 v1, v7, v1
	v_bfi_b32 v19, s18, v63, v19
	v_mul_f16_e32 v63, 0x3b15, v91
	v_mul_f16_e32 v62, 0xb9fd, v53
	v_mul_f16_e32 v91, 0xb9fd, v91
	v_pk_add_f16 v47, v47, v69 neg_lo:[0,1] neg_hi:[0,1]
	v_pk_add_f16 v69, v78, v95
	v_add_f16_e32 v58, v59, v58
	v_add_f16_e32 v59, v82, v90
	;; [unrolled: 1-line block ×3, first 2 shown]
	v_sub_f16_e32 v56, v123, v80
	v_add_f16_e32 v51, v52, v51
	v_add_f16_e32 v52, v76, v122
	;; [unrolled: 1-line block ×5, first 2 shown]
	v_sub_f16_e32 v24, v124, v35
	v_pk_add_f16 v1, v10, v1
	v_mul_f16_e32 v50, 0x2fb7, v50
	v_alignbit_b32 v85, v85, v85, 16
	v_bfi_b32 v47, s18, v47, v69
	v_bfi_b32 v69, s18, v79, v96
	v_add_f16_e32 v58, v59, v58
	v_add_f16_e32 v59, v88, v91
	;; [unrolled: 1-line block ×3, first 2 shown]
	v_sub_f16_e32 v56, v62, v94
	v_add_f16_e32 v51, v52, v51
	v_add_f16_e32 v52, v83, v63
	;; [unrolled: 1-line block ×4, first 2 shown]
	v_pk_add_f16 v1, v11, v1
	v_pk_add_f16 v50, v50, v69 neg_lo:[0,1] neg_hi:[0,1]
	v_pk_add_f16 v69, v85, v96
	v_add_f16_e32 v58, v59, v58
	v_add_f16_e32 v55, v56, v55
	;; [unrolled: 1-line block ×3, first 2 shown]
	v_add_lshl_u32 v24, v21, v36, 2
	v_pk_add_f16 v1, v15, v1
	v_pack_b32_f16 v2, v18, v27
	v_pk_add_f16 v0, v19, v0
	v_mul_f16_e32 v54, 0xbbc4, v54
	v_alignbit_b32 v89, v89, v89, 16
	v_bfi_b32 v50, s18, v50, v69
	v_bfi_b32 v69, s18, v86, v97
	ds_write2_b32 v24, v1, v2 offset1:1
	v_pack_b32_f16 v1, v55, v58
	v_pack_b32_f16 v2, v26, v51
	v_pk_add_f16 v0, v23, v0
	v_mul_f16_e32 v53, 0x388b, v53
	v_alignbit_b32 v92, v92, v92, 16
	v_pk_add_f16 v54, v54, v69 neg_lo:[0,1] neg_hi:[0,1]
	v_pk_add_f16 v69, v89, v97
	ds_write2_b32 v24, v2, v1 offset0:2 offset1:3
	v_pk_add_f16 v0, v47, v0
	v_bfi_b32 v1, s18, v72, v84
	v_bfi_b32 v54, s18, v54, v69
	v_pk_add_f16 v0, v50, v0
	v_pk_add_f16 v1, v53, v1 neg_lo:[0,1] neg_hi:[0,1]
	v_pk_add_f16 v2, v92, v84
	v_pk_add_f16 v0, v54, v0
	v_bfi_b32 v1, s18, v1, v2
	v_pk_add_f16 v0, v1, v0
	v_perm_b32 v1, v22, v17, s17
	ds_write2_b32 v24, v0, v1 offset0:4 offset1:5
	v_perm_b32 v0, v48, v44, s17
	v_alignbit_b32 v1, v49, v48, 16
	ds_write2_b32 v24, v0, v1 offset0:6 offset1:7
	v_bfi_b32 v0, s18, v42, v44
	v_perm_b32 v1, v43, v20, s17
	ds_write2_b32 v24, v1, v0 offset0:8 offset1:9
	v_perm_b32 v0, v40, v13, s17
	v_perm_b32 v1, v41, v16, s17
	ds_write2_b32 v24, v1, v0 offset0:10 offset1:11
	v_perm_b32 v0, v39, v14, s17
	ds_write_b32 v24, v0 offset:48
.LBB0_7:
	s_or_b64 exec, exec, s[0:1]
	v_add_lshl_u32 v35, v21, v32, 2
	v_add_u32_e32 v0, 0x200, v35
	s_waitcnt lgkmcnt(0)
	s_barrier
	ds_read2_b32 v[8:9], v35 offset1:91
	ds_read2_b32 v[10:11], v0 offset0:54 offset1:145
	ds_read_b32 v15, v35 offset:1456
	v_cmp_gt_u16_e64 s[0:1], 26, v32
	v_lshrrev_b32_e32 v19, 16, v48
	s_and_saveexec_b64 s[4:5], s[0:1]
	s_cbranch_execz .LBB0_9
; %bb.8:
	ds_read2_b32 v[17:18], v35 offset0:65 offset1:156
	ds_read2_b32 v[19:20], v0 offset0:119 offset1:210
	ds_read_b32 v42, v35 offset:1716
	s_mov_b32 s10, 0xffff
	s_waitcnt lgkmcnt(2)
	v_lshrrev_b32_e32 v22, 16, v17
	v_lshrrev_b32_e32 v48, 16, v18
	s_waitcnt lgkmcnt(1)
	v_lshrrev_b32_e32 v49, 16, v19
	v_lshrrev_b32_e32 v43, 16, v20
	s_waitcnt lgkmcnt(0)
	v_bfi_b32 v44, s10, v18, v42
.LBB0_9:
	s_or_b64 exec, exec, s[4:5]
	s_movk_i32 s4, 0x4f
	v_mul_lo_u16_sdwa v0, v32, s4 dst_sel:DWORD dst_unused:UNUSED_PAD src0_sel:BYTE_0 src1_sel:DWORD
	v_lshrrev_b16_e32 v50, 10, v0
	v_mul_lo_u16_e32 v0, 13, v50
	v_sub_u16_e32 v51, v32, v0
	v_mov_b32_e32 v0, 4
	v_lshlrev_b32_sdwa v1, v0, v51 dst_sel:DWORD dst_unused:UNUSED_PAD src0_sel:DWORD src1_sel:BYTE_0
	global_load_dwordx4 v[4:7], v1, s[2:3]
	v_add_u16_e32 v1, 0x41, v32
	v_mul_lo_u16_sdwa v2, v1, s4 dst_sel:DWORD dst_unused:UNUSED_PAD src0_sel:BYTE_0 src1_sel:DWORD
	v_lshrrev_b16_e32 v37, 10, v2
	v_mul_lo_u16_e32 v2, 13, v37
	v_sub_u16_e32 v38, v1, v2
	v_lshlrev_b32_sdwa v0, v0, v38 dst_sel:DWORD dst_unused:UNUSED_PAD src0_sel:DWORD src1_sel:BYTE_0
	global_load_dwordx4 v[0:3], v0, s[2:3]
	s_waitcnt lgkmcnt(2)
	v_lshrrev_b32_e32 v18, 16, v9
	s_waitcnt lgkmcnt(1)
	v_lshrrev_b32_e32 v23, 16, v10
	v_lshrrev_b32_e32 v24, 16, v11
	s_waitcnt lgkmcnt(0)
	v_lshrrev_b32_e32 v25, 16, v15
	v_lshrrev_b32_e32 v26, 16, v44
	;; [unrolled: 1-line block ×3, first 2 shown]
	s_movk_i32 s4, 0x3b9c
	s_mov_b32 s15, 0xbb9c
	s_movk_i32 s5, 0x38b4
	s_mov_b32 s16, 0xb8b4
	s_movk_i32 s14, 0x34f2
	s_load_dwordx4 s[8:11], s[8:9], 0x0
	s_waitcnt vmcnt(0) lgkmcnt(0)
	s_barrier
	v_mul_f16_sdwa v28, v18, v4 dst_sel:DWORD dst_unused:UNUSED_PAD src0_sel:DWORD src1_sel:WORD_1
	v_mul_f16_sdwa v30, v23, v5 dst_sel:DWORD dst_unused:UNUSED_PAD src0_sel:DWORD src1_sel:WORD_1
	;; [unrolled: 1-line block ×11, first 2 shown]
	v_fma_f16 v28, v9, v4, -v28
	v_fma_f16 v30, v10, v5, -v30
	;; [unrolled: 1-line block ×4, first 2 shown]
	v_mul_f16_sdwa v53, v48, v0 dst_sel:DWORD dst_unused:UNUSED_PAD src0_sel:DWORD src1_sel:WORD_1
	v_mul_f16_sdwa v54, v44, v0 dst_sel:DWORD dst_unused:UNUSED_PAD src0_sel:DWORD src1_sel:WORD_1
	;; [unrolled: 1-line block ×4, first 2 shown]
	v_fma_f16 v29, v18, v4, v29
	v_fma_f16 v34, v23, v5, v34
	;; [unrolled: 1-line block ×4, first 2 shown]
	v_fma_f16 v10, v19, v1, -v55
	v_fma_f16 v24, v49, v1, v56
	v_fma_f16 v11, v20, v2, -v57
	v_add_f16_e32 v19, v8, v28
	v_add_f16_e32 v20, v30, v45
	;; [unrolled: 1-line block ×3, first 2 shown]
	v_mul_f16_sdwa v60, v42, v3 dst_sel:DWORD dst_unused:UNUSED_PAD src0_sel:DWORD src1_sel:WORD_1
	v_fma_f16 v9, v44, v0, -v53
	v_fma_f16 v23, v48, v0, v54
	v_fma_f16 v25, v43, v2, v58
	v_fma_f16 v18, v42, v3, -v59
	v_sub_f16_e32 v42, v29, v47
	v_sub_f16_e32 v43, v34, v46
	;; [unrolled: 1-line block ×6, first 2 shown]
	v_add_f16_e32 v54, v27, v29
	v_add_f16_e32 v19, v19, v30
	v_fma_f16 v20, v20, -0.5, v8
	v_fma_f16 v8, v49, -0.5, v8
	v_add_f16_e32 v55, v34, v46
	v_add_f16_e32 v44, v44, v48
	;; [unrolled: 1-line block ×5, first 2 shown]
	v_fma_f16 v53, v42, s4, v20
	v_fma_f16 v20, v42, s15, v20
	;; [unrolled: 1-line block ×4, first 2 shown]
	v_fma_f16 v52, v55, -0.5, v27
	v_add_f16_e32 v55, v19, v15
	v_fma_f16 v19, v43, s5, v53
	v_fma_f16 v20, v43, s16, v20
	;; [unrolled: 1-line block ×6, first 2 shown]
	v_sub_f16_e32 v8, v28, v15
	v_fma_f16 v53, v44, s14, v19
	v_fma_f16 v54, v44, s14, v20
	;; [unrolled: 1-line block ×3, first 2 shown]
	v_sub_f16_e32 v19, v30, v45
	v_sub_f16_e32 v20, v29, v34
	;; [unrolled: 1-line block ×3, first 2 shown]
	v_fma_f16 v15, v19, s16, v15
	v_add_f16_e32 v20, v20, v28
	v_fma_f16 v57, v20, s14, v15
	v_fma_f16 v15, v8, s4, v52
	;; [unrolled: 1-line block ×4, first 2 shown]
	v_add_f16_e32 v15, v29, v47
	v_fma_f16 v15, v15, -0.5, v27
	v_fma_f16 v20, v19, s4, v15
	v_fma_f16 v15, v19, s15, v15
	v_fma_f16 v20, v8, s16, v20
	v_sub_f16_e32 v27, v34, v29
	v_sub_f16_e32 v28, v46, v47
	v_fma_f16 v8, v8, s5, v15
	v_sub_f16_e32 v15, v9, v10
	v_sub_f16_e32 v19, v18, v11
	v_add_f16_e32 v27, v27, v28
	v_add_f16_e32 v29, v15, v19
	;; [unrolled: 1-line block ×3, first 2 shown]
	v_fma_f16 v26, v26, v3, v60
	v_fma_f16 v58, v27, s14, v20
	v_sub_f16_e32 v28, v24, v25
	v_fma_f16 v20, v19, -0.5, v17
	v_fma_f16 v59, v27, s14, v8
	v_sub_f16_e32 v27, v23, v26
	v_fma_f16 v19, v28, s15, v20
	v_sub_f16_e32 v30, v10, v9
	v_sub_f16_e32 v34, v11, v18
	v_fma_f16 v20, v28, s4, v20
	v_fma_f16 v19, v27, s5, v19
	v_add_f16_e32 v30, v30, v34
	v_fma_f16 v20, v27, s16, v20
	v_fma_f16 v19, v30, s14, v19
	;; [unrolled: 1-line block ×3, first 2 shown]
	v_add_f16_e32 v30, v24, v25
	v_add_f16_e32 v49, v49, v46
	v_fma_f16 v30, v30, -0.5, v22
	v_sub_f16_e32 v34, v9, v18
	v_sub_f16_e32 v42, v23, v24
	;; [unrolled: 1-line block ×3, first 2 shown]
	v_add_f16_e32 v49, v49, v47
	v_sub_f16_e32 v46, v10, v11
	v_add_f16_e32 v47, v42, v43
	v_fma_f16 v42, v34, s4, v30
	v_fma_f16 v42, v46, s5, v42
	;; [unrolled: 1-line block ×3, first 2 shown]
	v_add_f16_e32 v42, v23, v26
	v_fma_f16 v42, v42, -0.5, v22
	v_fma_f16 v44, v46, s4, v42
	v_sub_f16_e32 v45, v24, v23
	v_sub_f16_e32 v60, v25, v26
	v_fma_f16 v42, v46, s15, v42
	v_fma_f16 v44, v34, s16, v44
	v_add_f16_e32 v45, v45, v60
	v_fma_f16 v42, v34, s5, v42
	v_add_f16_e32 v8, v10, v11
	v_fma_f16 v44, v45, s14, v44
	v_fma_f16 v45, v45, s14, v42
	v_mul_u32_u24_e32 v42, 0x41, v50
	v_fma_f16 v8, v8, -0.5, v17
	v_add_u32_sdwa v42, v42, v51 dst_sel:DWORD dst_unused:UNUSED_PAD src0_sel:DWORD src1_sel:BYTE_0
	v_fma_f16 v15, v27, s15, v8
	v_add_lshl_u32 v42, v21, v42, 2
	v_pack_b32_f16 v49, v55, v49
	v_pack_b32_f16 v50, v53, v57
	v_fma_f16 v15, v28, s16, v15
	ds_write2_b32 v42, v49, v50 offset1:13
	v_pack_b32_f16 v49, v56, v58
	v_pack_b32_f16 v48, v48, v59
	v_fma_f16 v15, v29, s14, v15
	ds_write2_b32 v42, v49, v48 offset0:26 offset1:39
	v_pack_b32_f16 v48, v54, v52
	ds_write_b32 v42, v48 offset:208
	s_and_saveexec_b64 s[4:5], s[0:1]
	s_cbranch_execz .LBB0_11
; %bb.10:
	v_mul_f16_e32 v27, 0x3b9c, v27
	v_mul_f16_e32 v34, 0x3b9c, v34
	v_add_f16_e32 v22, v22, v23
	v_add_f16_e32 v9, v17, v9
	v_mul_f16_e32 v28, 0x38b4, v28
	v_mul_f16_e32 v46, 0x38b4, v46
	v_sub_f16_e32 v30, v30, v34
	v_add_f16_e32 v8, v8, v27
	v_add_f16_e32 v22, v22, v24
	;; [unrolled: 1-line block ×3, first 2 shown]
	v_mul_f16_e32 v29, 0x34f2, v29
	v_mul_f16_e32 v47, 0x34f2, v47
	v_sub_f16_e32 v30, v30, v46
	v_add_f16_e32 v8, v28, v8
	v_add_f16_e32 v22, v22, v25
	;; [unrolled: 1-line block ×3, first 2 shown]
	v_mul_u32_u24_e32 v10, 0x41, v37
	v_add_f16_e32 v30, v47, v30
	v_add_f16_e32 v8, v29, v8
	v_add_f16_e32 v22, v22, v26
	v_add_f16_e32 v9, v9, v18
	v_add_u32_sdwa v10, v10, v38 dst_sel:DWORD dst_unused:UNUSED_PAD src0_sel:DWORD src1_sel:BYTE_0
	v_add_lshl_u32 v10, v21, v10, 2
	v_pack_b32_f16 v9, v9, v22
	v_pack_b32_f16 v8, v8, v30
	s_mov_b32 s14, 0x5040100
	ds_write2_b32 v10, v9, v8 offset1:13
	v_perm_b32 v8, v44, v19, s14
	v_perm_b32 v9, v45, v20, s14
	ds_write2_b32 v10, v8, v9 offset0:26 offset1:39
	v_perm_b32 v8, v43, v15, s14
	ds_write_b32 v10, v8 offset:208
.LBB0_11:
	s_or_b64 exec, exec, s[4:5]
	v_mad_u64_u32 v[21:22], s[2:3], v32, 24, s[2:3]
	s_waitcnt lgkmcnt(0)
	s_barrier
	global_load_dwordx4 v[8:11], v[21:22], off offset:208
	global_load_dwordx2 v[17:18], v[21:22], off offset:224
	v_add_u32_e32 v25, 0x400, v35
	ds_read_b32 v27, v35
	ds_read2_b32 v[21:22], v35 offset0:65 offset1:130
	v_add_u32_e32 v23, 0x200, v35
	ds_read2_b32 v[25:26], v25 offset0:69 offset1:134
	ds_read2_b32 v[23:24], v23 offset0:67 offset1:132
	s_movk_i32 s2, 0x2b26
	s_waitcnt lgkmcnt(2)
	v_lshrrev_b32_e32 v28, 16, v21
	v_lshrrev_b32_e32 v29, 16, v22
	s_waitcnt lgkmcnt(1)
	v_lshrrev_b32_e32 v46, 16, v25
	v_lshrrev_b32_e32 v47, 16, v26
	;; [unrolled: 3-line block ×3, first 2 shown]
	s_mov_b32 s4, 0xbcab
	s_movk_i32 s3, 0x3b00
	s_waitcnt vmcnt(1)
	v_mul_f16_sdwa v48, v28, v8 dst_sel:DWORD dst_unused:UNUSED_PAD src0_sel:DWORD src1_sel:WORD_1
	v_mul_f16_sdwa v49, v21, v8 dst_sel:DWORD dst_unused:UNUSED_PAD src0_sel:DWORD src1_sel:WORD_1
	;; [unrolled: 1-line block ×4, first 2 shown]
	s_waitcnt vmcnt(0)
	v_mul_f16_sdwa v56, v46, v17 dst_sel:DWORD dst_unused:UNUSED_PAD src0_sel:DWORD src1_sel:WORD_1
	v_mul_f16_sdwa v57, v25, v17 dst_sel:DWORD dst_unused:UNUSED_PAD src0_sel:DWORD src1_sel:WORD_1
	;; [unrolled: 1-line block ×8, first 2 shown]
	v_fma_f16 v21, v21, v8, -v48
	v_fma_f16 v28, v28, v8, v49
	v_fma_f16 v22, v22, v9, -v50
	v_fma_f16 v29, v29, v9, v51
	;; [unrolled: 2-line block ×6, first 2 shown]
	v_add_f16_e32 v48, v21, v26
	v_add_f16_e32 v49, v28, v47
	v_sub_f16_e32 v21, v21, v26
	v_sub_f16_e32 v26, v28, v47
	v_add_f16_e32 v28, v22, v25
	v_add_f16_e32 v47, v29, v46
	v_sub_f16_e32 v22, v22, v25
	v_sub_f16_e32 v25, v29, v46
	;; [unrolled: 4-line block ×4, first 2 shown]
	v_sub_f16_e32 v48, v48, v29
	v_sub_f16_e32 v49, v49, v46
	;; [unrolled: 1-line block ×4, first 2 shown]
	v_add_f16_e32 v47, v23, v22
	v_add_f16_e32 v29, v29, v30
	;; [unrolled: 1-line block ×4, first 2 shown]
	v_sub_f16_e32 v54, v23, v22
	v_sub_f16_e32 v23, v21, v23
	;; [unrolled: 1-line block ×3, first 2 shown]
	v_add_f16_e32 v21, v47, v21
	v_mul_f16_e32 v34, 0x3a52, v48
	v_mul_f16_e32 v48, 0x3a52, v49
	v_add_f16_e32 v46, v27, v29
	v_add_f16_sdwa v47, v27, v30 dst_sel:DWORD dst_unused:UNUSED_PAD src0_sel:WORD_1 src1_sel:DWORD
	v_sub_f16_e32 v55, v24, v25
	v_sub_f16_e32 v24, v26, v24
	;; [unrolled: 1-line block ×3, first 2 shown]
	v_add_f16_e32 v26, v53, v26
	v_mul_f16_e32 v49, 0x2b26, v28
	v_mul_f16_e32 v53, 0x2b26, v52
	v_fma_f16 v27, v28, s2, v34
	v_fma_f16 v28, v29, s4, v46
	;; [unrolled: 1-line block ×4, first 2 shown]
	s_movk_i32 s2, 0x39e0
	v_fma_f16 v49, v50, s2, -v49
	v_fma_f16 v52, v51, s2, -v53
	s_mov_b32 s2, 0xb9e0
	v_mul_f16_e32 v54, 0xb846, v54
	v_mul_f16_e32 v55, 0xb846, v55
	v_fma_f16 v34, v50, s2, -v34
	v_fma_f16 v48, v51, s2, -v48
	s_movk_i32 s2, 0x3574
	v_mul_f16_e32 v56, 0x3b00, v22
	v_mul_f16_e32 v57, 0x3b00, v25
	v_fma_f16 v50, v23, s2, v54
	v_fma_f16 v51, v24, s2, v55
	s_mov_b32 s2, 0xb574
	v_fma_f16 v25, v25, s3, -v55
	v_fma_f16 v23, v23, s2, -v56
	;; [unrolled: 1-line block ×3, first 2 shown]
	s_movk_i32 s2, 0x370e
	v_fma_f16 v22, v22, s3, -v54
	v_add_f16_e32 v27, v27, v28
	v_add_f16_e32 v30, v30, v29
	;; [unrolled: 1-line block ×6, first 2 shown]
	v_fma_f16 v34, v21, s2, v50
	v_fma_f16 v54, v26, s2, v51
	;; [unrolled: 1-line block ×6, first 2 shown]
	v_add_f16_e32 v21, v54, v27
	v_sub_f16_e32 v48, v30, v34
	v_add_f16_e32 v22, v26, v28
	v_sub_f16_e32 v49, v29, v55
	v_sub_f16_e32 v23, v53, v25
	v_add_f16_e32 v24, v25, v53
	v_sub_f16_e32 v25, v28, v26
	v_sub_f16_e32 v26, v27, v54
	v_add_f16_e32 v53, v34, v30
	v_lshl_add_u32 v34, v32, 2, v33
	v_pack_b32_f16 v27, v46, v47
	v_add_f16_e32 v50, v51, v52
	v_sub_f16_e32 v51, v52, v51
	ds_write_b32 v34, v27
	v_pack_b32_f16 v27, v21, v48
	v_pack_b32_f16 v28, v22, v49
	v_add_f16_e32 v52, v55, v29
	ds_write2_b32 v34, v27, v28 offset0:65 offset1:130
	v_pack_b32_f16 v27, v23, v50
	v_pack_b32_f16 v29, v24, v51
	v_add_u32_e32 v28, 0x200, v34
	ds_write2_b32 v28, v27, v29 offset0:67 offset1:132
	v_pack_b32_f16 v29, v25, v52
	v_pack_b32_f16 v30, v26, v53
	v_add_u32_e32 v27, 0x400, v34
	ds_write2_b32 v27, v29, v30 offset0:69 offset1:134
	s_waitcnt lgkmcnt(0)
	s_barrier
	s_and_saveexec_b64 s[2:3], vcc
	s_cbranch_execz .LBB0_13
; %bb.12:
	global_load_dword v29, v31, s[6:7] offset:1820
	s_add_u32 s4, s6, 0x71c
	s_addc_u32 s5, s7, 0
	global_load_dword v64, v31, s[4:5] offset:140
	global_load_dword v65, v31, s[4:5] offset:280
	;; [unrolled: 1-line block ×10, first 2 shown]
	ds_read_b32 v30, v34
	global_load_dword v74, v31, s[4:5] offset:1540
	global_load_dword v75, v31, s[4:5] offset:1680
	s_waitcnt lgkmcnt(0)
	v_lshrrev_b32_e32 v54, 16, v30
	s_waitcnt vmcnt(12)
	v_mul_f16_sdwa v55, v54, v29 dst_sel:DWORD dst_unused:UNUSED_PAD src0_sel:DWORD src1_sel:WORD_1
	v_mul_f16_sdwa v56, v30, v29 dst_sel:DWORD dst_unused:UNUSED_PAD src0_sel:DWORD src1_sel:WORD_1
	v_fma_f16 v30, v30, v29, -v55
	v_fma_f16 v29, v54, v29, v56
	v_pack_b32_f16 v29, v30, v29
	ds_write_b32 v34, v29
	ds_read2_b32 v[29:30], v34 offset0:35 offset1:70
	ds_read2_b32 v[54:55], v34 offset0:105 offset1:140
	;; [unrolled: 1-line block ×6, first 2 shown]
	s_waitcnt lgkmcnt(5)
	v_lshrrev_b32_e32 v76, 16, v29
	s_waitcnt vmcnt(11)
	v_mul_f16_sdwa v77, v29, v64 dst_sel:DWORD dst_unused:UNUSED_PAD src0_sel:DWORD src1_sel:WORD_1
	v_lshrrev_b32_e32 v78, 16, v30
	s_waitcnt vmcnt(10)
	v_mul_f16_sdwa v79, v30, v65 dst_sel:DWORD dst_unused:UNUSED_PAD src0_sel:DWORD src1_sel:WORD_1
	s_waitcnt lgkmcnt(4)
	v_lshrrev_b32_e32 v80, 16, v54
	s_waitcnt vmcnt(9)
	v_mul_f16_sdwa v81, v54, v66 dst_sel:DWORD dst_unused:UNUSED_PAD src0_sel:DWORD src1_sel:WORD_1
	v_lshrrev_b32_e32 v82, 16, v55
	s_waitcnt vmcnt(8)
	v_mul_f16_sdwa v83, v55, v67 dst_sel:DWORD dst_unused:UNUSED_PAD src0_sel:DWORD src1_sel:WORD_1
	;; [unrolled: 7-line block ×4, first 2 shown]
	s_waitcnt lgkmcnt(1)
	v_lshrrev_b32_e32 v92, 16, v60
	s_waitcnt vmcnt(3)
	v_mul_f16_sdwa v93, v60, v72 dst_sel:DWORD dst_unused:UNUSED_PAD src0_sel:DWORD src1_sel:WORD_1
	v_lshrrev_b32_e32 v94, 16, v61
	v_mul_f16_sdwa v96, v76, v64 dst_sel:DWORD dst_unused:UNUSED_PAD src0_sel:DWORD src1_sel:WORD_1
	v_fma_f16 v76, v76, v64, v77
	v_mul_f16_sdwa v77, v78, v65 dst_sel:DWORD dst_unused:UNUSED_PAD src0_sel:DWORD src1_sel:WORD_1
	s_waitcnt vmcnt(2)
	v_mul_f16_sdwa v95, v61, v73 dst_sel:DWORD dst_unused:UNUSED_PAD src0_sel:DWORD src1_sel:WORD_1
	v_fma_f16 v78, v78, v65, v79
	v_mul_f16_sdwa v79, v80, v66 dst_sel:DWORD dst_unused:UNUSED_PAD src0_sel:DWORD src1_sel:WORD_1
	v_fma_f16 v80, v80, v66, v81
	;; [unrolled: 2-line block ×8, first 2 shown]
	v_mul_f16_sdwa v93, v94, v73 dst_sel:DWORD dst_unused:UNUSED_PAD src0_sel:DWORD src1_sel:WORD_1
	v_fma_f16 v29, v29, v64, -v96
	v_fma_f16 v30, v30, v65, -v77
	v_fma_f16 v94, v94, v73, v95
	v_fma_f16 v54, v54, v66, -v79
	v_fma_f16 v55, v55, v67, -v81
	;; [unrolled: 1-line block ×8, first 2 shown]
	v_pack_b32_f16 v29, v29, v76
	v_pack_b32_f16 v30, v30, v78
	;; [unrolled: 1-line block ×10, first 2 shown]
	ds_write2_b32 v34, v29, v30 offset0:35 offset1:70
	ds_write2_b32 v34, v54, v55 offset0:105 offset1:140
	;; [unrolled: 1-line block ×5, first 2 shown]
	s_waitcnt lgkmcnt(5)
	v_lshrrev_b32_e32 v28, 16, v62
	s_waitcnt vmcnt(1)
	v_mul_f16_sdwa v29, v28, v74 dst_sel:DWORD dst_unused:UNUSED_PAD src0_sel:DWORD src1_sel:WORD_1
	v_mul_f16_sdwa v30, v62, v74 dst_sel:DWORD dst_unused:UNUSED_PAD src0_sel:DWORD src1_sel:WORD_1
	v_fma_f16 v29, v62, v74, -v29
	v_fma_f16 v28, v28, v74, v30
	v_pack_b32_f16 v28, v29, v28
	v_lshrrev_b32_e32 v29, 16, v63
	s_waitcnt vmcnt(0)
	v_mul_f16_sdwa v30, v29, v75 dst_sel:DWORD dst_unused:UNUSED_PAD src0_sel:DWORD src1_sel:WORD_1
	v_mul_f16_sdwa v54, v63, v75 dst_sel:DWORD dst_unused:UNUSED_PAD src0_sel:DWORD src1_sel:WORD_1
	v_fma_f16 v30, v63, v75, -v30
	v_fma_f16 v29, v29, v75, v54
	v_pack_b32_f16 v29, v30, v29
	ds_write2_b32 v27, v28, v29 offset0:129 offset1:164
.LBB0_13:
	s_or_b64 exec, exec, s[2:3]
	s_waitcnt lgkmcnt(0)
	s_barrier
	s_and_saveexec_b64 s[2:3], vcc
	s_cbranch_execz .LBB0_15
; %bb.14:
	v_add_u32_e32 v13, 0x200, v34
	ds_read_b32 v46, v34
	ds_read2_b32 v[21:22], v34 offset0:35 offset1:70
	ds_read2_b32 v[23:24], v34 offset0:105 offset1:140
	;; [unrolled: 1-line block ×4, first 2 shown]
	v_add_u32_e32 v13, 0x400, v34
	ds_read2_b32 v[15:16], v13 offset0:59 offset1:94
	ds_read2_b32 v[13:14], v13 offset0:129 offset1:164
	s_waitcnt lgkmcnt(6)
	v_lshrrev_b32_e32 v47, 16, v46
	s_waitcnt lgkmcnt(5)
	v_lshrrev_b32_e32 v48, 16, v21
	v_lshrrev_b32_e32 v49, 16, v22
	s_waitcnt lgkmcnt(4)
	v_lshrrev_b32_e32 v50, 16, v23
	;; [unrolled: 3-line block ×6, first 2 shown]
	v_lshrrev_b32_e32 v39, 16, v14
.LBB0_15:
	s_or_b64 exec, exec, s[2:3]
	v_sub_f16_e32 v67, v48, v39
	v_add_f16_e32 v60, v14, v21
	v_add_f16_e32 v69, v39, v48
	s_mov_b32 s4, 0xb5ac
	v_mul_f16_e32 v79, 0xbb7b, v67
	v_sub_f16_e32 v71, v49, v40
	v_sub_f16_e32 v61, v21, v14
	s_mov_b32 s14, 0xbb7b
	v_mul_f16_e32 v81, 0xb5ac, v69
	v_fma_f16 v27, v60, s4, -v79
	s_mov_b32 s5, 0xb9fd
	v_add_f16_e32 v62, v13, v22
	v_add_f16_e32 v73, v40, v49
	v_mul_f16_e32 v83, 0x394e, v71
	v_add_f16_e32 v27, v46, v27
	v_fma_f16 v28, v61, s14, v81
	s_movk_i32 s19, 0x394e
	v_sub_f16_e32 v63, v22, v13
	v_mul_f16_e32 v85, 0xb9fd, v73
	v_fma_f16 v64, v62, s5, -v83
	v_add_f16_e32 v28, v47, v28
	v_mul_f16_e32 v29, 0xb94e, v67
	v_add_f16_e32 v27, v64, v27
	v_fma_f16 v64, v63, s19, v85
	v_fma_f16 v30, v60, s5, v29
	v_add_f16_e32 v28, v64, v28
	v_mul_f16_e32 v64, 0x3bf1, v71
	s_movk_i32 s18, 0x2fb7
	s_mov_b32 s15, 0xb94e
	v_add_f16_e32 v30, v46, v30
	v_mul_f16_e32 v54, 0xb9fd, v69
	v_fma_f16 v29, v60, s5, -v29
	v_fma_f16 v65, v62, s18, v64
	v_fma_f16 v55, v61, s19, v54
	v_add_f16_e32 v29, v46, v29
	v_fma_f16 v54, v61, s15, v54
	s_movk_i32 s22, 0x3bf1
	v_add_f16_e32 v30, v65, v30
	v_mul_f16_e32 v65, 0x2fb7, v73
	v_fma_f16 v64, v62, s18, -v64
	v_add_f16_e32 v54, v47, v54
	v_mul_f16_e32 v56, 0xb3a8, v67
	s_mov_b32 s16, 0xbbc4
	v_add_f16_e32 v29, v64, v29
	v_fma_f16 v64, v63, s22, v65
	v_fma_f16 v57, v60, s16, v56
	s_mov_b32 s20, 0xbbf1
	v_add_f16_e32 v54, v64, v54
	v_mul_f16_e32 v64, 0x3770, v71
	s_movk_i32 s21, 0x3b15
	s_mov_b32 s17, 0xb3a8
	v_add_f16_e32 v57, v46, v57
	v_mul_f16_e32 v58, 0xbbc4, v69
	s_movk_i32 s27, 0x33a8
	v_fma_f16 v56, v60, s16, -v56
	v_fma_f16 v66, v63, s20, v65
	v_fma_f16 v65, v62, s21, v64
	;; [unrolled: 1-line block ×3, first 2 shown]
	v_add_f16_e32 v56, v46, v56
	v_fma_f16 v58, v61, s17, v58
	s_movk_i32 s25, 0x3770
	v_add_f16_e32 v57, v65, v57
	v_mul_f16_e32 v65, 0x3b15, v73
	v_fma_f16 v64, v62, s21, -v64
	v_add_f16_e32 v55, v47, v55
	v_add_f16_e32 v58, v47, v58
	s_mov_b32 s23, 0xb770
	v_add_f16_e32 v56, v64, v56
	v_fma_f16 v64, v63, s25, v65
	v_sub_f16_e32 v76, v50, v41
	v_add_f16_e32 v59, v47, v59
	v_add_f16_e32 v55, v66, v55
	v_fma_f16 v66, v63, s23, v65
	v_add_f16_e32 v58, v64, v58
	v_add_f16_e32 v64, v16, v23
	;; [unrolled: 1-line block ×3, first 2 shown]
	v_mul_f16_e32 v88, 0x3770, v76
	v_add_f16_e32 v59, v66, v59
	v_sub_f16_e32 v65, v23, v16
	v_mul_f16_e32 v89, 0x3b15, v77
	v_fma_f16 v66, v64, s21, -v88
	v_add_f16_e32 v27, v66, v27
	v_fma_f16 v66, v65, s25, v89
	v_add_f16_e32 v28, v66, v28
	v_mul_f16_e32 v66, 0xba95, v76
	s_movk_i32 s24, 0x388b
	v_fma_f16 v68, v64, s24, v66
	s_mov_b32 s26, 0xba95
	v_add_f16_e32 v30, v68, v30
	v_mul_f16_e32 v68, 0x388b, v77
	v_fma_f16 v66, v64, s24, -v66
	v_add_f16_e32 v29, v66, v29
	v_fma_f16 v66, v65, s26, v68
	s_movk_i32 s28, 0x3a95
	v_add_f16_e32 v54, v66, v54
	v_mul_f16_e32 v66, 0xb94e, v76
	v_fma_f16 v70, v65, s28, v68
	v_fma_f16 v68, v64, s5, v66
	v_add_f16_e32 v57, v68, v57
	v_mul_f16_e32 v68, 0xb9fd, v77
	v_fma_f16 v66, v64, s5, -v66
	v_add_f16_e32 v56, v66, v56
	v_fma_f16 v66, v65, s15, v68
	v_sub_f16_e32 v78, v51, v43
	v_add_f16_e32 v55, v70, v55
	v_fma_f16 v70, v65, s19, v68
	v_add_f16_e32 v58, v66, v58
	v_add_f16_e32 v66, v15, v24
	v_add_f16_e32 v80, v43, v51
	v_mul_f16_e32 v90, 0xbbf1, v78
	v_add_f16_e32 v59, v70, v59
	v_sub_f16_e32 v68, v24, v15
	v_mul_f16_e32 v91, 0x2fb7, v80
	v_fma_f16 v70, v66, s18, -v90
	v_add_f16_e32 v27, v70, v27
	v_fma_f16 v70, v68, s20, v91
	v_add_f16_e32 v28, v70, v28
	v_mul_f16_e32 v70, 0x33a8, v78
	v_fma_f16 v72, v66, s16, v70
	v_add_f16_e32 v30, v72, v30
	v_mul_f16_e32 v72, 0xbbc4, v80
	v_fma_f16 v70, v66, s16, -v70
	v_add_f16_e32 v29, v70, v29
	v_fma_f16 v70, v68, s27, v72
	v_add_f16_e32 v54, v70, v54
	v_mul_f16_e32 v70, 0x3a95, v78
	v_fma_f16 v74, v68, s17, v72
	v_fma_f16 v72, v66, s24, v70
	v_add_f16_e32 v57, v72, v57
	v_mul_f16_e32 v72, 0x388b, v80
	v_fma_f16 v70, v66, s24, -v70
	v_add_f16_e32 v56, v70, v56
	v_fma_f16 v70, v68, s28, v72
	v_sub_f16_e32 v82, v52, v45
	v_add_f16_e32 v55, v74, v55
	v_fma_f16 v74, v68, s26, v72
	v_add_f16_e32 v58, v70, v58
	v_add_f16_e32 v70, v20, v25
	;; [unrolled: 1-line block ×3, first 2 shown]
	v_mul_f16_e32 v92, 0x33a8, v82
	v_add_f16_e32 v59, v74, v59
	v_sub_f16_e32 v72, v25, v20
	v_mul_f16_e32 v93, 0xbbc4, v84
	v_fma_f16 v74, v70, s16, -v92
	v_add_f16_e32 v27, v74, v27
	v_fma_f16 v74, v72, s27, v93
	v_add_f16_e32 v96, v74, v28
	v_mul_f16_e32 v28, 0x3770, v82
	v_fma_f16 v74, v70, s21, v28
	v_add_f16_e32 v30, v74, v30
	v_mul_f16_e32 v74, 0x3b15, v84
	v_fma_f16 v28, v70, s21, -v28
	v_add_f16_e32 v29, v28, v29
	v_fma_f16 v28, v72, s25, v74
	v_add_f16_e32 v97, v28, v54
	v_mul_f16_e32 v28, 0xbb7b, v82
	v_fma_f16 v54, v70, s4, v28
	v_add_f16_e32 v98, v54, v57
	v_mul_f16_e32 v54, 0xb5ac, v84
	v_fma_f16 v28, v70, s4, -v28
	v_sub_f16_e32 v86, v53, v44
	v_fma_f16 v75, v72, s23, v74
	v_add_f16_e32 v99, v28, v56
	v_fma_f16 v28, v72, s14, v54
	v_add_f16_e32 v74, v19, v26
	v_add_f16_e32 v87, v44, v53
	v_mul_f16_e32 v94, 0x3a95, v86
	v_add_f16_e32 v55, v75, v55
	v_add_f16_e32 v100, v28, v58
	v_sub_f16_e32 v75, v26, v19
	v_mul_f16_e32 v95, 0x388b, v87
	v_fma_f16 v28, v74, s24, -v94
	v_add_f16_e32 v28, v28, v27
	v_fma_f16 v27, v75, s28, v95
	s_movk_i32 s29, 0x3b7b
	v_add_f16_e32 v56, v27, v96
	v_mul_f16_e32 v27, 0xbb7b, v86
	v_fma_f16 v57, v72, s29, v54
	v_fma_f16 v54, v74, s4, v27
	v_add_f16_e32 v54, v54, v30
	v_mul_f16_e32 v30, 0xb5ac, v87
	v_fma_f16 v27, v74, s4, -v27
	v_mul_f16_e32 v96, 0x2fb7, v87
	v_add_f16_e32 v59, v57, v59
	v_fma_f16 v57, v75, s29, v30
	v_add_f16_e32 v27, v27, v29
	v_fma_f16 v29, v75, s14, v30
	v_mul_f16_e32 v30, 0x3bf1, v86
	v_fma_f16 v58, v75, s20, v96
	v_add_f16_e32 v55, v57, v55
	v_add_f16_e32 v57, v29, v97
	v_fma_f16 v29, v74, s18, v30
	v_add_f16_e32 v58, v58, v59
	v_fma_f16 v30, v74, s18, -v30
	v_fma_f16 v59, v75, s22, v96
	v_add_f16_e32 v29, v29, v98
	v_add_f16_e32 v30, v30, v99
	;; [unrolled: 1-line block ×3, first 2 shown]
	s_barrier
	s_and_saveexec_b64 s[2:3], vcc
	s_cbranch_execz .LBB0_17
; %bb.16:
	v_mul_f16_e32 v96, 0xb5ac, v60
	v_mul_f16_e32 v97, 0xbb7b, v61
	;; [unrolled: 1-line block ×3, first 2 shown]
	v_add_f16_e32 v79, v96, v79
	v_mul_f16_e32 v99, 0x394e, v63
	v_mul_f16_e32 v100, 0x3b15, v64
	v_sub_f16_e32 v81, v81, v97
	v_add_f16_e32 v79, v46, v79
	v_add_f16_e32 v83, v98, v83
	v_mul_f16_e32 v101, 0x3770, v65
	v_mul_f16_e32 v102, 0x2fb7, v66
	v_add_f16_e32 v81, v47, v81
	v_sub_f16_e32 v85, v85, v99
	v_add_f16_e32 v79, v83, v79
	v_add_f16_e32 v83, v100, v88
	v_mul_f16_e32 v103, 0xbbf1, v68
	v_mul_f16_e32 v104, 0xbbc4, v70
	v_add_f16_e32 v81, v85, v81
	;; [unrolled: 6-line block ×3, first 2 shown]
	v_sub_f16_e32 v85, v91, v103
	v_add_f16_e32 v79, v83, v79
	v_add_f16_e32 v83, v104, v92
	v_mul_f16_e32 v107, 0x3a95, v75
	v_add_f16_e32 v81, v85, v81
	v_sub_f16_e32 v85, v93, v105
	v_add_f16_e32 v79, v83, v79
	v_add_f16_e32 v83, v106, v94
	;; [unrolled: 1-line block ×3, first 2 shown]
	v_sub_f16_e32 v85, v95, v107
	v_add_f16_e32 v79, v83, v79
	v_mul_f16_e32 v83, 0x2fb7, v69
	v_add_f16_e32 v81, v85, v81
	v_fma_f16 v85, v61, s22, v83
	v_mul_f16_e32 v88, 0xbbc4, v73
	v_add_f16_e32 v85, v47, v85
	v_fma_f16 v89, v63, s27, v88
	v_add_f16_e32 v85, v89, v85
	v_mul_f16_e32 v89, 0xb5ac, v77
	v_fma_f16 v90, v65, s14, v89
	v_add_f16_e32 v85, v90, v85
	v_mul_f16_e32 v90, 0x3b15, v80
	;; [unrolled: 3-line block ×5, first 2 shown]
	v_add_f16_e32 v21, v21, v46
	v_fma_f16 v94, v60, s18, v93
	v_mul_f16_e32 v95, 0xb3a8, v71
	v_add_f16_e32 v21, v22, v21
	v_add_f16_e32 v94, v46, v94
	v_fma_f16 v96, v62, s16, v95
	v_add_f16_e32 v21, v23, v21
	v_add_f16_e32 v94, v96, v94
	v_mul_f16_e32 v96, 0x3b7b, v76
	v_add_f16_e32 v21, v24, v21
	v_fma_f16 v97, v64, s4, v96
	v_add_f16_e32 v21, v25, v21
	v_add_f16_e32 v94, v97, v94
	v_mul_f16_e32 v97, 0x3770, v78
	;; [unrolled: 5-line block ×4, first 2 shown]
	v_add_f16_e32 v15, v16, v15
	v_fma_f16 v100, v74, s5, v99
	v_add_f16_e32 v13, v13, v15
	v_fma_f16 v15, v61, s20, v83
	v_add_f16_e32 v94, v100, v94
	v_mul_f16_e32 v100, 0x388b, v69
	v_add_f16_e32 v15, v47, v15
	v_fma_f16 v16, v63, s17, v88
	v_fma_f16 v101, v61, s28, v100
	v_mul_f16_e32 v102, 0xb5ac, v73
	v_add_f16_e32 v15, v16, v15
	v_fma_f16 v16, v65, s29, v89
	v_add_f16_e32 v101, v47, v101
	v_fma_f16 v103, v63, s29, v102
	;; [unrolled: 2-line block ×3, first 2 shown]
	v_add_f16_e32 v101, v103, v101
	v_mul_f16_e32 v103, 0xbbc4, v77
	v_add_f16_e32 v15, v16, v15
	v_fma_f16 v16, v72, s26, v91
	v_fma_f16 v104, v65, s27, v103
	v_add_f16_e32 v15, v16, v15
	v_fma_f16 v16, v75, s15, v92
	v_add_f16_e32 v101, v104, v101
	v_mul_f16_e32 v104, 0xb9fd, v80
	v_add_f16_e32 v15, v16, v15
	v_fma_f16 v16, v60, s18, -v93
	v_fma_f16 v105, v68, s15, v104
	v_add_f16_e32 v16, v46, v16
	v_fma_f16 v19, v62, s16, -v95
	v_add_f16_e32 v101, v105, v101
	v_mul_f16_e32 v105, 0x2fb7, v84
	v_add_f16_e32 v16, v19, v16
	v_fma_f16 v19, v64, s4, -v96
	v_fma_f16 v106, v72, s20, v105
	v_add_f16_e32 v16, v19, v16
	v_fma_f16 v19, v66, s21, -v97
	;; [unrolled: 7-line block ×3, first 2 shown]
	v_add_f16_e32 v101, v107, v101
	v_mul_f16_e32 v107, 0xba95, v67
	v_add_f16_e32 v16, v19, v16
	v_fma_f16 v19, v61, s26, v100
	v_fma_f16 v108, v60, s24, v107
	v_mul_f16_e32 v109, 0xbb7b, v71
	v_add_f16_e32 v19, v47, v19
	v_fma_f16 v20, v63, s14, v102
	v_add_f16_e32 v108, v46, v108
	v_fma_f16 v110, v62, s4, v109
	;; [unrolled: 2-line block ×3, first 2 shown]
	v_add_f16_e32 v108, v110, v108
	v_mul_f16_e32 v110, 0xb3a8, v76
	v_add_f16_e32 v19, v20, v19
	v_fma_f16 v20, v68, s19, v104
	v_fma_f16 v111, v64, s16, v110
	v_add_f16_e32 v19, v20, v19
	v_fma_f16 v20, v72, s22, v105
	v_add_f16_e32 v108, v111, v108
	v_mul_f16_e32 v111, 0x394e, v78
	v_add_f16_e32 v19, v20, v19
	v_fma_f16 v20, v75, s25, v106
	v_fma_f16 v112, v66, s5, v111
	v_add_f16_e32 v19, v20, v19
	v_fma_f16 v20, v60, s24, -v107
	v_add_f16_e32 v108, v112, v108
	v_mul_f16_e32 v112, 0x3bf1, v82
	v_add_f16_e32 v20, v46, v20
	v_fma_f16 v21, v62, s4, -v109
	v_fma_f16 v113, v70, s18, v112
	v_add_f16_e32 v20, v21, v20
	v_fma_f16 v21, v64, s16, -v110
	v_add_f16_e32 v108, v113, v108
	v_mul_f16_e32 v113, 0x3770, v86
	v_add_f16_e32 v20, v21, v20
	v_fma_f16 v21, v66, s5, -v111
	v_fma_f16 v114, v74, s21, v113
	v_mul_f16_e32 v69, 0x3b15, v69
	v_add_f16_e32 v20, v21, v20
	v_fma_f16 v21, v70, s18, -v112
	v_add_f16_e32 v108, v114, v108
	v_fma_f16 v114, v61, s25, v69
	v_mul_f16_e32 v73, 0x388b, v73
	v_add_f16_e32 v20, v21, v20
	v_fma_f16 v21, v74, s21, -v113
	v_add_f16_e32 v114, v47, v114
	v_fma_f16 v115, v63, s28, v73
	v_mul_f16_e32 v77, 0x2fb7, v77
	v_add_f16_e32 v13, v14, v13
	v_add_f16_e32 v14, v48, v47
	;; [unrolled: 1-line block ×3, first 2 shown]
	v_fma_f16 v21, v61, s23, v69
	v_add_f16_e32 v114, v115, v114
	v_fma_f16 v115, v65, s22, v77
	v_mul_f16_e32 v80, 0xb5ac, v80
	v_add_f16_e32 v14, v49, v14
	v_add_f16_e32 v21, v47, v21
	v_fma_f16 v22, v63, s26, v73
	v_add_f16_e32 v114, v115, v114
	v_fma_f16 v115, v68, s29, v80
	v_mul_f16_e32 v84, 0xb9fd, v84
	v_add_f16_e32 v14, v50, v14
	v_add_f16_e32 v21, v22, v21
	;; [unrolled: 6-line block ×6, first 2 shown]
	v_fma_f16 v22, v60, s21, -v67
	v_add_f16_e32 v115, v116, v115
	v_fma_f16 v116, v64, s18, v76
	v_mul_f16_e32 v78, 0xbb7b, v78
	v_add_f16_e32 v14, v45, v14
	v_add_f16_e32 v22, v46, v22
	v_fma_f16 v23, v62, s24, -v71
	v_add_f16_e32 v115, v116, v115
	v_fma_f16 v116, v66, s4, v78
	v_mul_f16_e32 v82, 0xb94e, v82
	v_add_f16_e32 v14, v43, v14
	v_add_f16_e32 v22, v23, v22
	;; [unrolled: 6-line block ×3, first 2 shown]
	v_fma_f16 v23, v66, s4, -v78
	v_add_f16_e32 v115, v116, v115
	v_fma_f16 v116, v74, s16, v86
	v_add_f16_e32 v14, v40, v14
	v_add_f16_e32 v22, v23, v22
	v_fma_f16 v23, v70, s5, -v82
	v_add_f16_e32 v115, v116, v115
	v_add_f16_e32 v14, v39, v14
	;; [unrolled: 1-line block ×3, first 2 shown]
	v_fma_f16 v23, v74, s16, -v86
	v_add_f16_e32 v22, v23, v22
	v_lshl_add_u32 v23, v36, 2, v33
	v_pack_b32_f16 v24, v115, v114
	v_pack_b32_f16 v13, v13, v14
	ds_write2_b32 v23, v13, v24 offset1:1
	v_pack_b32_f16 v13, v94, v85
	v_pack_b32_f16 v14, v108, v101
	s_mov_b32 s4, 0x5040100
	ds_write2_b32 v23, v14, v13 offset0:2 offset1:3
	v_pack_b32_f16 v13, v79, v81
	v_perm_b32 v14, v55, v54, s4
	ds_write2_b32 v23, v13, v14 offset0:4 offset1:5
	v_perm_b32 v13, v59, v30, s4
	v_perm_b32 v14, v58, v29, s4
	ds_write2_b32 v23, v14, v13 offset0:6 offset1:7
	v_perm_b32 v13, v56, v28, s4
	v_perm_b32 v14, v57, v27, s4
	ds_write2_b32 v23, v14, v13 offset0:8 offset1:9
	v_pack_b32_f16 v13, v20, v19
	v_pack_b32_f16 v14, v16, v15
	ds_write2_b32 v23, v14, v13 offset0:10 offset1:11
	v_pack_b32_f16 v13, v22, v21
	ds_write_b32 v23, v13 offset:48
.LBB0_17:
	s_or_b64 exec, exec, s[2:3]
	v_add_u32_e32 v15, 0x200, v35
	s_waitcnt lgkmcnt(0)
	s_barrier
	ds_read2_b32 v[13:14], v35 offset1:91
	ds_read2_b32 v[15:16], v15 offset0:54 offset1:145
	ds_read_b32 v19, v35 offset:1456
	s_and_saveexec_b64 s[2:3], s[0:1]
	s_cbranch_execz .LBB0_19
; %bb.18:
	v_add_u32_e32 v20, 0x400, v35
	ds_read_b32 v54, v35 offset:260
	ds_read2_b32 v[29:30], v35 offset0:156 offset1:247
	ds_read2_b32 v[27:28], v20 offset0:82 offset1:173
	s_waitcnt lgkmcnt(2)
	v_lshrrev_b32_e32 v55, 16, v54
	s_waitcnt lgkmcnt(1)
	v_lshrrev_b32_e32 v58, 16, v29
	v_lshrrev_b32_e32 v59, 16, v30
	s_waitcnt lgkmcnt(0)
	v_lshrrev_b32_e32 v57, 16, v27
	v_lshrrev_b32_e32 v56, 16, v28
.LBB0_19:
	s_or_b64 exec, exec, s[2:3]
	s_waitcnt lgkmcnt(2)
	v_lshrrev_b32_e32 v21, 16, v14
	v_mul_f16_sdwa v25, v4, v21 dst_sel:DWORD dst_unused:UNUSED_PAD src0_sel:WORD_1 src1_sel:DWORD
	s_waitcnt lgkmcnt(1)
	v_lshrrev_b32_e32 v22, 16, v15
	v_fma_f16 v25, v4, v14, v25
	v_mul_f16_sdwa v14, v4, v14 dst_sel:DWORD dst_unused:UNUSED_PAD src0_sel:WORD_1 src1_sel:DWORD
	v_fma_f16 v4, v4, v21, -v14
	v_mul_f16_sdwa v14, v5, v22 dst_sel:DWORD dst_unused:UNUSED_PAD src0_sel:WORD_1 src1_sel:DWORD
	v_lshrrev_b32_e32 v23, 16, v16
	v_fma_f16 v14, v5, v15, v14
	v_mul_f16_sdwa v15, v5, v15 dst_sel:DWORD dst_unused:UNUSED_PAD src0_sel:WORD_1 src1_sel:DWORD
	v_fma_f16 v5, v5, v22, -v15
	v_mul_f16_sdwa v15, v6, v23 dst_sel:DWORD dst_unused:UNUSED_PAD src0_sel:WORD_1 src1_sel:DWORD
	s_waitcnt lgkmcnt(0)
	v_lshrrev_b32_e32 v24, 16, v19
	v_fma_f16 v15, v6, v16, v15
	v_mul_f16_sdwa v16, v6, v16 dst_sel:DWORD dst_unused:UNUSED_PAD src0_sel:WORD_1 src1_sel:DWORD
	v_fma_f16 v6, v6, v23, -v16
	v_mul_f16_sdwa v16, v7, v24 dst_sel:DWORD dst_unused:UNUSED_PAD src0_sel:WORD_1 src1_sel:DWORD
	v_fma_f16 v16, v7, v19, v16
	v_mul_f16_sdwa v19, v7, v19 dst_sel:DWORD dst_unused:UNUSED_PAD src0_sel:WORD_1 src1_sel:DWORD
	v_fma_f16 v7, v7, v24, -v19
	v_add_f16_e32 v21, v14, v15
	v_fma_f16 v21, v21, -0.5, v13
	v_sub_f16_e32 v22, v4, v7
	s_mov_b32 s5, 0xbb9c
	s_movk_i32 s15, 0x3b9c
	v_fma_f16 v23, v22, s5, v21
	v_sub_f16_e32 v24, v5, v6
	s_mov_b32 s4, 0xb8b4
	v_sub_f16_e32 v26, v25, v14
	v_sub_f16_e32 v36, v16, v15
	v_fma_f16 v21, v22, s15, v21
	s_movk_i32 s16, 0x38b4
	v_fma_f16 v23, v24, s4, v23
	v_add_f16_e32 v26, v26, v36
	s_movk_i32 s14, 0x34f2
	v_fma_f16 v21, v24, s16, v21
	v_add_f16_e32 v19, v13, v25
	v_fma_f16 v23, v26, s14, v23
	v_fma_f16 v21, v26, s14, v21
	v_add_f16_e32 v26, v25, v16
	v_lshrrev_b32_e32 v20, 16, v13
	v_add_f16_e32 v19, v19, v14
	v_fma_f16 v13, v26, -0.5, v13
	v_add_f16_e32 v19, v19, v15
	v_fma_f16 v26, v24, s15, v13
	v_fma_f16 v13, v24, s5, v13
	v_add_f16_e32 v24, v5, v6
	v_add_f16_e32 v19, v19, v16
	v_sub_f16_e32 v36, v14, v25
	v_sub_f16_e32 v39, v15, v16
	v_fma_f16 v24, v24, -0.5, v20
	v_sub_f16_e32 v16, v25, v16
	v_fma_f16 v26, v22, s4, v26
	v_add_f16_e32 v36, v36, v39
	v_fma_f16 v13, v22, s16, v13
	v_fma_f16 v25, v16, s15, v24
	v_sub_f16_e32 v14, v14, v15
	v_fma_f16 v26, v36, s14, v26
	v_fma_f16 v13, v36, s14, v13
	;; [unrolled: 1-line block ×3, first 2 shown]
	v_sub_f16_e32 v25, v4, v5
	v_sub_f16_e32 v36, v7, v6
	v_fma_f16 v24, v16, s5, v24
	v_add_f16_e32 v25, v25, v36
	v_fma_f16 v24, v14, s4, v24
	v_add_f16_e32 v22, v20, v4
	v_fma_f16 v15, v25, s14, v15
	v_fma_f16 v24, v25, s14, v24
	v_add_f16_e32 v25, v4, v7
	v_add_f16_e32 v22, v22, v5
	v_fma_f16 v20, v25, -0.5, v20
	v_add_f16_e32 v22, v22, v6
	v_fma_f16 v25, v14, s5, v20
	v_sub_f16_e32 v4, v5, v4
	v_sub_f16_e32 v5, v6, v7
	v_fma_f16 v6, v14, s15, v20
	v_fma_f16 v25, v16, s16, v25
	v_add_f16_e32 v4, v4, v5
	v_fma_f16 v6, v16, s4, v6
	v_fma_f16 v5, v4, s14, v25
	;; [unrolled: 1-line block ×3, first 2 shown]
	v_add_f16_e32 v22, v22, v7
	v_pack_b32_f16 v5, v26, v5
	v_pack_b32_f16 v4, v13, v4
	s_barrier
	v_pack_b32_f16 v6, v19, v22
	v_pack_b32_f16 v7, v23, v15
	ds_write2_b32 v42, v5, v4 offset0:26 offset1:39
	v_pack_b32_f16 v4, v21, v24
	ds_write2_b32 v42, v6, v7 offset1:13
	ds_write_b32 v42, v4 offset:208
	s_and_saveexec_b64 s[2:3], s[0:1]
	s_cbranch_execz .LBB0_21
; %bb.20:
	v_mul_f16_sdwa v4, v0, v29 dst_sel:DWORD dst_unused:UNUSED_PAD src0_sel:WORD_1 src1_sel:DWORD
	v_mul_f16_sdwa v5, v1, v30 dst_sel:DWORD dst_unused:UNUSED_PAD src0_sel:WORD_1 src1_sel:DWORD
	;; [unrolled: 1-line block ×4, first 2 shown]
	v_fma_f16 v4, v0, v58, -v4
	v_fma_f16 v5, v1, v59, -v5
	;; [unrolled: 1-line block ×4, first 2 shown]
	v_sub_f16_e32 v6, v4, v5
	v_sub_f16_e32 v14, v7, v13
	v_add_f16_e32 v6, v14, v6
	v_mul_f16_sdwa v14, v1, v59 dst_sel:DWORD dst_unused:UNUSED_PAD src0_sel:WORD_1 src1_sel:DWORD
	v_mul_f16_sdwa v15, v0, v58 dst_sel:DWORD dst_unused:UNUSED_PAD src0_sel:WORD_1 src1_sel:DWORD
	v_fma_f16 v1, v1, v30, v14
	v_mul_f16_sdwa v14, v2, v57 dst_sel:DWORD dst_unused:UNUSED_PAD src0_sel:WORD_1 src1_sel:DWORD
	v_fma_f16 v0, v0, v29, v15
	;; [unrolled: 2-line block ×3, first 2 shown]
	v_fma_f16 v3, v3, v28, v15
	v_sub_f16_e32 v20, v0, v1
	v_sub_f16_e32 v21, v3, v2
	v_add_f16_e32 v25, v4, v55
	v_add_f16_e32 v26, v54, v0
	v_sub_f16_e32 v14, v1, v2
	v_sub_f16_e32 v15, v0, v3
	v_add_f16_e32 v16, v5, v13
	v_add_f16_e32 v20, v21, v20
	;; [unrolled: 1-line block ×3, first 2 shown]
	v_sub_f16_e32 v22, v4, v7
	v_sub_f16_e32 v24, v5, v13
	v_add_f16_e32 v25, v5, v25
	v_add_f16_e32 v26, v1, v26
	v_sub_f16_e32 v5, v5, v4
	v_add_f16_e32 v4, v7, v4
	v_sub_f16_e32 v1, v1, v0
	v_add_f16_e32 v0, v3, v0
	v_add_f16_e32 v25, v13, v25
	;; [unrolled: 1-line block ×3, first 2 shown]
	v_fma_f16 v4, v4, -0.5, v55
	v_sub_f16_e32 v2, v2, v3
	v_fma_f16 v0, v0, -0.5, v54
	v_add_f16_e32 v25, v7, v25
	v_sub_f16_e32 v13, v13, v7
	v_fma_f16 v7, v14, s15, v4
	v_fma_f16 v4, v14, s5, v4
	v_add_f16_e32 v1, v2, v1
	v_fma_f16 v2, v24, s5, v0
	v_fma_f16 v0, v24, s15, v0
	v_fma_f16 v16, v16, -0.5, v55
	v_fma_f16 v21, v21, -0.5, v54
	v_add_f16_e32 v5, v13, v5
	v_fma_f16 v7, v15, s4, v7
	v_fma_f16 v4, v15, s16, v4
	;; [unrolled: 1-line block ×6, first 2 shown]
	v_add_f16_e32 v26, v3, v26
	v_fma_f16 v7, v5, s14, v7
	v_fma_f16 v4, v5, s14, v4
	;; [unrolled: 1-line block ×6, first 2 shown]
	v_mul_u32_u24_e32 v3, 0x41, v37
	v_fma_f16 v19, v14, s16, v19
	v_fma_f16 v23, v24, s4, v23
	;; [unrolled: 1-line block ×4, first 2 shown]
	v_add_u32_sdwa v3, v3, v38 dst_sel:DWORD dst_unused:UNUSED_PAD src0_sel:DWORD src1_sel:BYTE_0
	v_fma_f16 v19, v6, s14, v19
	v_fma_f16 v23, v20, s14, v23
	;; [unrolled: 1-line block ×4, first 2 shown]
	v_lshl_add_u32 v3, v3, 2, v33
	v_pack_b32_f16 v0, v0, v4
	v_pack_b32_f16 v2, v2, v7
	;; [unrolled: 1-line block ×4, first 2 shown]
	ds_write2_b32 v3, v0, v2 offset0:26 offset1:39
	v_pack_b32_f16 v0, v1, v5
	ds_write2_b32 v3, v6, v13 offset1:13
	ds_write_b32 v3, v0 offset:208
.LBB0_21:
	s_or_b64 exec, exec, s[2:3]
	s_waitcnt lgkmcnt(0)
	s_barrier
	ds_read_b32 v6, v35
	ds_read2_b32 v[0:1], v35 offset0:65 offset1:130
	v_add_u32_e32 v2, 0x200, v35
	ds_read2_b32 v[2:3], v2 offset0:67 offset1:132
	v_add_u32_e32 v4, 0x400, v35
	ds_read2_b32 v[4:5], v4 offset0:69 offset1:134
	s_waitcnt lgkmcnt(2)
	v_lshrrev_b32_e32 v7, 16, v0
	v_mul_f16_sdwa v20, v8, v7 dst_sel:DWORD dst_unused:UNUSED_PAD src0_sel:WORD_1 src1_sel:DWORD
	v_lshrrev_b32_e32 v13, 16, v1
	v_fma_f16 v20, v8, v0, v20
	v_mul_f16_sdwa v0, v8, v0 dst_sel:DWORD dst_unused:UNUSED_PAD src0_sel:WORD_1 src1_sel:DWORD
	v_fma_f16 v0, v8, v7, -v0
	v_mul_f16_sdwa v7, v9, v13 dst_sel:DWORD dst_unused:UNUSED_PAD src0_sel:WORD_1 src1_sel:DWORD
	s_waitcnt lgkmcnt(1)
	v_lshrrev_b32_e32 v14, 16, v2
	v_lshrrev_b32_e32 v15, 16, v3
	v_fma_f16 v7, v9, v1, v7
	v_mul_f16_sdwa v1, v9, v1 dst_sel:DWORD dst_unused:UNUSED_PAD src0_sel:WORD_1 src1_sel:DWORD
	v_fma_f16 v1, v9, v13, -v1
	v_mul_f16_sdwa v8, v10, v14 dst_sel:DWORD dst_unused:UNUSED_PAD src0_sel:WORD_1 src1_sel:DWORD
	v_mul_f16_sdwa v9, v11, v15 dst_sel:DWORD dst_unused:UNUSED_PAD src0_sel:WORD_1 src1_sel:DWORD
	s_waitcnt lgkmcnt(0)
	v_lshrrev_b32_e32 v16, 16, v4
	v_lshrrev_b32_e32 v19, 16, v5
	v_fma_f16 v8, v10, v2, v8
	v_mul_f16_sdwa v2, v10, v2 dst_sel:DWORD dst_unused:UNUSED_PAD src0_sel:WORD_1 src1_sel:DWORD
	v_fma_f16 v9, v11, v3, v9
	v_mul_f16_sdwa v3, v11, v3 dst_sel:DWORD dst_unused:UNUSED_PAD src0_sel:WORD_1 src1_sel:DWORD
	v_fma_f16 v2, v10, v14, -v2
	v_fma_f16 v3, v11, v15, -v3
	v_mul_f16_sdwa v10, v17, v16 dst_sel:DWORD dst_unused:UNUSED_PAD src0_sel:WORD_1 src1_sel:DWORD
	v_mul_f16_sdwa v11, v18, v19 dst_sel:DWORD dst_unused:UNUSED_PAD src0_sel:WORD_1 src1_sel:DWORD
	v_fma_f16 v10, v17, v4, v10
	v_mul_f16_sdwa v4, v17, v4 dst_sel:DWORD dst_unused:UNUSED_PAD src0_sel:WORD_1 src1_sel:DWORD
	v_fma_f16 v11, v18, v5, v11
	v_mul_f16_sdwa v5, v18, v5 dst_sel:DWORD dst_unused:UNUSED_PAD src0_sel:WORD_1 src1_sel:DWORD
	v_fma_f16 v4, v17, v16, -v4
	v_fma_f16 v5, v18, v19, -v5
	v_add_f16_e32 v13, v20, v11
	v_add_f16_e32 v14, v0, v5
	v_sub_f16_e32 v0, v0, v5
	v_add_f16_e32 v5, v7, v10
	v_add_f16_e32 v15, v1, v4
	v_sub_f16_e32 v7, v7, v10
	v_sub_f16_e32 v1, v1, v4
	v_add_f16_e32 v4, v8, v9
	v_add_f16_e32 v10, v2, v3
	v_sub_f16_e32 v8, v9, v8
	v_sub_f16_e32 v11, v20, v11
	;; [unrolled: 1-line block ×3, first 2 shown]
	v_add_f16_e32 v3, v5, v13
	v_add_f16_e32 v9, v15, v14
	v_sub_f16_e32 v16, v5, v13
	v_sub_f16_e32 v17, v15, v14
	;; [unrolled: 1-line block ×4, first 2 shown]
	v_add_f16_e32 v18, v8, v7
	v_sub_f16_e32 v5, v4, v5
	v_sub_f16_e32 v15, v10, v15
	;; [unrolled: 1-line block ×5, first 2 shown]
	v_add_f16_e32 v3, v4, v3
	v_add_f16_e32 v4, v10, v9
	;; [unrolled: 1-line block ×3, first 2 shown]
	v_mul_f16_e32 v11, 0x3a52, v13
	v_mul_f16_e32 v13, 0x3a52, v14
	s_movk_i32 s0, 0x2b26
	v_mul_f16_e32 v14, 0x2b26, v5
	v_mul_f16_e32 v18, 0x2b26, v15
	v_fma_f16 v5, v5, s0, v11
	v_fma_f16 v15, v15, s0, v13
	s_movk_i32 s0, 0x39e0
	v_add_f16_e32 v19, v2, v1
	v_sub_f16_e32 v21, v2, v1
	v_fma_f16 v14, v16, s0, -v14
	v_fma_f16 v18, v17, s0, -v18
	s_mov_b32 s0, 0xb9e0
	v_sub_f16_e32 v2, v0, v2
	v_sub_f16_e32 v1, v1, v0
	v_add_f16_e32 v0, v19, v0
	v_mul_f16_e32 v19, 0x3846, v20
	v_mul_f16_e32 v20, 0x3846, v21
	v_fma_f16 v11, v16, s0, -v11
	v_fma_f16 v13, v17, s0, -v13
	s_mov_b32 s0, 0xb574
	v_add_f16_e32 v10, v6, v3
	v_add_f16_sdwa v6, v6, v4 dst_sel:DWORD dst_unused:UNUSED_PAD src0_sel:WORD_1 src1_sel:DWORD
	s_mov_b32 s1, 0xbb00
	v_mul_f16_e32 v21, 0xbb00, v7
	v_mul_f16_e32 v22, 0xbb00, v1
	s_mov_b32 s2, 0xbcab
	v_fma_f16 v16, v8, s0, v19
	v_fma_f16 v17, v2, s0, v20
	s_movk_i32 s0, 0x3574
	v_fma_f16 v3, v3, s2, v10
	v_fma_f16 v4, v4, s2, v6
	v_fma_f16 v1, v1, s1, -v20
	v_fma_f16 v8, v8, s0, -v21
	;; [unrolled: 1-line block ×3, first 2 shown]
	s_mov_b32 s0, 0xb70e
	v_fma_f16 v7, v7, s1, -v19
	v_add_f16_e32 v5, v5, v3
	v_add_f16_e32 v15, v15, v4
	;; [unrolled: 1-line block ×6, first 2 shown]
	v_fma_f16 v11, v9, s0, v16
	v_fma_f16 v13, v0, s0, v17
	v_fma_f16 v1, v0, s0, v1
	v_fma_f16 v8, v9, s0, v8
	v_fma_f16 v0, v0, s0, v2
	v_fma_f16 v7, v9, s0, v7
	v_add_f16_e32 v2, v13, v5
	v_sub_f16_e32 v9, v15, v11
	v_add_f16_e32 v16, v0, v3
	v_sub_f16_e32 v17, v4, v8
	v_pack_b32_f16 v6, v10, v6
	v_sub_f16_e32 v19, v14, v1
	v_add_f16_e32 v20, v7, v18
	v_add_f16_e32 v1, v1, v14
	v_sub_f16_e32 v7, v18, v7
	ds_write_b32 v34, v6
	v_pack_b32_f16 v2, v2, v9
	v_pack_b32_f16 v6, v16, v17
	v_sub_f16_e32 v0, v3, v0
	v_add_f16_e32 v3, v8, v4
	v_sub_f16_e32 v4, v5, v13
	v_add_f16_e32 v5, v11, v15
	ds_write2_b32 v34, v2, v6 offset0:65 offset1:130
	v_pack_b32_f16 v2, v19, v20
	v_pack_b32_f16 v1, v1, v7
	v_add_u32_e32 v8, 0x200, v34
	ds_write2_b32 v8, v2, v1 offset0:67 offset1:132
	v_pack_b32_f16 v0, v0, v3
	v_pack_b32_f16 v1, v4, v5
	v_add_u32_e32 v7, 0x400, v34
	ds_write2_b32 v7, v0, v1 offset0:69 offset1:134
	s_waitcnt lgkmcnt(0)
	s_barrier
	s_and_b64 exec, exec, vcc
	s_cbranch_execz .LBB0_23
; %bb.22:
	global_load_dword v11, v31, s[6:7]
	global_load_dword v10, v31, s[6:7] offset:140
	ds_read_b32 v18, v34
	v_mad_u64_u32 v[2:3], s[0:1], s10, v12, 0
	v_mad_u64_u32 v[4:5], s[0:1], s8, v32, 0
	v_mov_b32_e32 v6, 0x7c00
	s_mov_b32 s14, 0x12012012
	v_mad_u64_u32 v[19:20], s[0:1], s11, v12, v[3:4]
	s_waitcnt lgkmcnt(0)
	v_lshrrev_b32_e32 v3, 16, v18
	v_mad_u64_u32 v[20:21], s[0:1], s9, v32, v[5:6]
	s_mov_b32 s15, 0x3f620120
	s_movk_i32 s18, 0x1ff
	ds_read2_b32 v[0:1], v34 offset0:35 offset1:70
	global_load_dword v13, v31, s[6:7] offset:280
	global_load_dword v14, v31, s[6:7] offset:420
	;; [unrolled: 1-line block ×6, first 2 shown]
	s_movk_i32 s17, 0xffe
	v_mov_b32_e32 v5, v20
	s_movk_i32 s16, 0x40f
	s_waitcnt lgkmcnt(0)
	v_lshrrev_b32_e32 v23, 16, v0
	s_mov_b32 s10, 0x8000
	s_waitcnt vmcnt(7)
	v_mul_f16_sdwa v12, v3, v11 dst_sel:DWORD dst_unused:UNUSED_PAD src0_sel:DWORD src1_sel:WORD_1
	v_fma_f16 v12, v18, v11, v12
	v_mul_f16_sdwa v18, v18, v11 dst_sel:DWORD dst_unused:UNUSED_PAD src0_sel:DWORD src1_sel:WORD_1
	v_cvt_f32_f16_e32 v12, v12
	v_fma_f16 v3, v11, v3, -v18
	v_cvt_f32_f16_e32 v3, v3
	v_cvt_f64_f32_e32 v[11:12], v12
	v_cvt_f64_f32_e32 v[21:22], v3
	s_waitcnt vmcnt(6)
	v_mul_f16_sdwa v3, v23, v10 dst_sel:DWORD dst_unused:UNUSED_PAD src0_sel:DWORD src1_sel:WORD_1
	v_mul_f64 v[11:12], v[11:12], s[14:15]
	v_fma_f16 v3, v0, v10, v3
	v_mul_f64 v[21:22], v[21:22], s[14:15]
	v_cvt_f32_f16_e32 v18, v3
	v_mov_b32_e32 v3, v19
	v_lshlrev_b64 v[2:3], 2, v[2:3]
	v_mul_f16_sdwa v0, v0, v10 dst_sel:DWORD dst_unused:UNUSED_PAD src0_sel:DWORD src1_sel:WORD_1
	v_cvt_f64_f32_e32 v[18:19], v18
	v_and_or_b32 v11, v12, s18, v11
	v_cmp_ne_u32_e32 vcc, 0, v11
	v_and_or_b32 v21, v22, s18, v21
	v_lshrrev_b32_e32 v20, 8, v12
	v_bfe_u32 v24, v12, 20, 11
	v_cndmask_b32_e64 v11, 0, 1, vcc
	v_cmp_ne_u32_e32 vcc, 0, v21
	v_lshrrev_b32_e32 v25, 8, v22
	v_bfe_u32 v26, v22, 20, 11
	v_sub_u32_e32 v27, 0x3f1, v24
	v_cndmask_b32_e64 v21, 0, 1, vcc
	v_and_or_b32 v11, v20, s17, v11
	v_sub_u32_e32 v28, 0x3f1, v26
	v_med3_i32 v20, v27, 0, 13
	v_and_or_b32 v21, v25, s17, v21
	v_or_b32_e32 v27, 0x1000, v11
	v_add_u32_e32 v24, 0xfffffc10, v24
	v_med3_i32 v25, v28, 0, 13
	v_cmp_ne_u32_e32 vcc, 0, v11
	v_or_b32_e32 v29, 0x1000, v21
	v_lshrrev_b32_e32 v32, v20, v27
	v_add_u32_e32 v26, 0xfffffc10, v26
	v_lshl_or_b32 v28, v24, 12, v11
	v_cndmask_b32_e64 v11, 0, 1, vcc
	v_cmp_ne_u32_e32 vcc, 0, v21
	v_lshrrev_b32_e32 v33, v25, v29
	v_lshlrev_b32_e32 v20, v20, v32
	v_lshl_or_b32 v30, v26, 12, v21
	v_cndmask_b32_e64 v21, 0, 1, vcc
	v_lshlrev_b32_e32 v25, v25, v33
	v_cmp_ne_u32_e32 vcc, v20, v27
	v_cndmask_b32_e64 v20, 0, 1, vcc
	v_cmp_ne_u32_e32 vcc, v25, v29
	v_cndmask_b32_e64 v25, 0, 1, vcc
	v_or_b32_e32 v20, v32, v20
	v_cmp_gt_i32_e32 vcc, 1, v24
	v_cndmask_b32_e32 v20, v28, v20, vcc
	v_or_b32_e32 v25, v33, v25
	v_cmp_gt_i32_e32 vcc, 1, v26
	v_and_b32_e32 v27, 7, v20
	v_cndmask_b32_e32 v25, v30, v25, vcc
	v_cmp_lt_i32_e32 vcc, 5, v27
	v_cmp_eq_u32_e64 s[0:1], 3, v27
	v_lshrrev_b32_e32 v20, 2, v20
	v_and_b32_e32 v28, 7, v25
	s_or_b64 vcc, s[0:1], vcc
	v_cmp_lt_i32_e64 s[2:3], 5, v28
	v_cmp_eq_u32_e64 s[4:5], 3, v28
	v_addc_co_u32_e32 v20, vcc, 0, v20, vcc
	v_lshrrev_b32_e32 v25, 2, v25
	s_or_b64 vcc, s[4:5], s[2:3]
	v_addc_co_u32_e32 v25, vcc, 0, v25, vcc
	v_cmp_gt_i32_e32 vcc, 31, v24
	v_cndmask_b32_e32 v20, v6, v20, vcc
	v_cmp_gt_i32_e32 vcc, 31, v26
	v_lshl_or_b32 v11, v11, 9, v6
	v_cndmask_b32_e32 v25, v6, v25, vcc
	v_cmp_eq_u32_e32 vcc, s16, v24
	v_lshrrev_b32_e32 v12, 16, v12
	v_lshl_or_b32 v21, v21, 9, v6
	v_cndmask_b32_e32 v11, v20, v11, vcc
	v_cmp_eq_u32_e32 vcc, s16, v26
	v_lshrrev_b32_e32 v22, 16, v22
	v_cndmask_b32_e32 v20, v25, v21, vcc
	v_and_or_b32 v11, v12, s10, v11
	v_and_or_b32 v12, v22, s10, v20
	v_and_b32_e32 v11, 0xffff, v11
	v_lshl_or_b32 v20, v12, 16, v11
	v_mul_f64 v[11:12], v[18:19], s[14:15]
	v_mov_b32_e32 v21, s13
	v_add_co_u32_e32 v18, vcc, s12, v2
	v_addc_co_u32_e32 v19, vcc, v21, v3, vcc
	v_lshlrev_b64 v[2:3], 2, v[4:5]
	v_fma_f16 v0, v10, v23, -v0
	v_add_co_u32_e32 v2, vcc, v18, v2
	v_addc_co_u32_e32 v3, vcc, v19, v3, vcc
	v_and_or_b32 v4, v12, s18, v11
	v_cmp_ne_u32_e32 vcc, 0, v4
	v_cndmask_b32_e64 v4, 0, 1, vcc
	v_lshrrev_b32_e32 v5, 8, v12
	v_and_or_b32 v11, v5, s17, v4
	v_bfe_u32 v5, v12, 20, 11
	v_sub_u32_e32 v18, 0x3f1, v5
	v_or_b32_e32 v4, 0x1000, v11
	v_med3_i32 v18, v18, 0, 13
	v_lshrrev_b32_e32 v19, v18, v4
	v_lshlrev_b32_e32 v18, v18, v19
	v_cmp_ne_u32_e32 vcc, v18, v4
	v_cndmask_b32_e64 v4, 0, 1, vcc
	v_add_u32_e32 v18, 0xfffffc10, v5
	v_cvt_f32_f16_e32 v0, v0
	v_or_b32_e32 v4, v19, v4
	v_lshl_or_b32 v5, v18, 12, v11
	v_cmp_gt_i32_e32 vcc, 1, v18
	v_cndmask_b32_e32 v4, v5, v4, vcc
	v_and_b32_e32 v5, 7, v4
	v_cmp_lt_i32_e32 vcc, 5, v5
	v_cmp_eq_u32_e64 s[0:1], 3, v5
	v_lshrrev_b32_e32 v10, 2, v4
	v_cvt_f64_f32_e32 v[4:5], v0
	s_or_b64 vcc, s[0:1], vcc
	v_addc_co_u32_e32 v0, vcc, 0, v10, vcc
	v_mul_f64 v[4:5], v[4:5], s[14:15]
	v_cmp_gt_i32_e32 vcc, 31, v18
	v_cndmask_b32_e32 v0, v6, v0, vcc
	v_cmp_ne_u32_e32 vcc, 0, v11
	v_cndmask_b32_e64 v10, 0, 1, vcc
	v_lshl_or_b32 v10, v10, 9, v6
	v_cmp_eq_u32_e32 vcc, s16, v18
	v_cndmask_b32_e32 v0, v0, v10, vcc
	v_and_or_b32 v4, v5, s18, v4
	v_lshrrev_b32_e32 v10, 16, v12
	v_cmp_ne_u32_e32 vcc, 0, v4
	v_and_or_b32 v0, v10, s10, v0
	v_cndmask_b32_e64 v4, 0, 1, vcc
	v_lshrrev_b32_e32 v10, 8, v5
	v_bfe_u32 v11, v5, 20, 11
	v_and_or_b32 v4, v10, s17, v4
	v_sub_u32_e32 v12, 0x3f1, v11
	v_or_b32_e32 v10, 0x1000, v4
	v_med3_i32 v12, v12, 0, 13
	v_lshrrev_b32_e32 v18, v12, v10
	v_lshlrev_b32_e32 v12, v12, v18
	v_cmp_ne_u32_e32 vcc, v12, v10
	v_cndmask_b32_e64 v10, 0, 1, vcc
	v_add_u32_e32 v11, 0xfffffc10, v11
	v_or_b32_e32 v10, v18, v10
	v_lshl_or_b32 v12, v11, 12, v4
	v_cmp_gt_i32_e32 vcc, 1, v11
	v_cndmask_b32_e32 v10, v12, v10, vcc
	v_and_b32_e32 v12, 7, v10
	v_cmp_lt_i32_e32 vcc, 5, v12
	v_cmp_eq_u32_e64 s[0:1], 3, v12
	v_lshrrev_b32_e32 v10, 2, v10
	s_or_b64 vcc, s[0:1], vcc
	v_addc_co_u32_e32 v10, vcc, 0, v10, vcc
	v_cmp_gt_i32_e32 vcc, 31, v11
	v_cndmask_b32_e32 v10, v6, v10, vcc
	v_cmp_ne_u32_e32 vcc, 0, v4
	v_cndmask_b32_e64 v4, 0, 1, vcc
	v_lshl_or_b32 v4, v4, 9, v6
	v_cmp_eq_u32_e32 vcc, s16, v11
	v_cndmask_b32_e32 v4, v10, v4, vcc
	v_lshrrev_b32_e32 v10, 16, v1
	s_waitcnt vmcnt(5)
	v_mul_f16_sdwa v11, v10, v13 dst_sel:DWORD dst_unused:UNUSED_PAD src0_sel:DWORD src1_sel:WORD_1
	v_fma_f16 v11, v1, v13, v11
	v_cvt_f32_f16_e32 v11, v11
	v_lshrrev_b32_e32 v5, 16, v5
	v_and_or_b32 v4, v5, s10, v4
	v_and_b32_e32 v0, 0xffff, v0
	v_lshl_or_b32 v0, v4, 16, v0
	v_cvt_f64_f32_e32 v[4:5], v11
	s_mul_i32 s0, s9, 0x8c
	s_mul_hi_u32 s2, s8, 0x8c
	s_add_i32 s2, s2, s0
	v_mul_f64 v[4:5], v[4:5], s[14:15]
	s_mul_i32 s3, s8, 0x8c
	global_store_dword v[2:3], v20, off
	v_mov_b32_e32 v11, s2
	v_add_co_u32_e32 v2, vcc, s3, v2
	v_addc_co_u32_e32 v3, vcc, v3, v11, vcc
	global_store_dword v[2:3], v0, off
	v_and_or_b32 v0, v5, s18, v4
	v_cmp_ne_u32_e32 vcc, 0, v0
	v_cndmask_b32_e64 v0, 0, 1, vcc
	v_lshrrev_b32_e32 v4, 8, v5
	v_bfe_u32 v11, v5, 20, 11
	v_and_or_b32 v4, v4, s17, v0
	v_sub_u32_e32 v12, 0x3f1, v11
	v_or_b32_e32 v0, 0x1000, v4
	v_med3_i32 v12, v12, 0, 13
	v_lshrrev_b32_e32 v18, v12, v0
	v_mul_f16_sdwa v1, v1, v13 dst_sel:DWORD dst_unused:UNUSED_PAD src0_sel:DWORD src1_sel:WORD_1
	v_lshlrev_b32_e32 v12, v12, v18
	v_fma_f16 v1, v13, v10, -v1
	v_cmp_ne_u32_e32 vcc, v12, v0
	v_cvt_f32_f16_e32 v1, v1
	v_cndmask_b32_e64 v0, 0, 1, vcc
	v_add_u32_e32 v11, 0xfffffc10, v11
	v_or_b32_e32 v0, v18, v0
	v_lshl_or_b32 v12, v11, 12, v4
	v_cmp_gt_i32_e32 vcc, 1, v11
	v_cndmask_b32_e32 v0, v12, v0, vcc
	v_and_b32_e32 v12, 7, v0
	v_lshrrev_b32_e32 v10, 2, v0
	v_cvt_f64_f32_e32 v[0:1], v1
	v_cmp_lt_i32_e32 vcc, 5, v12
	v_cmp_eq_u32_e64 s[0:1], 3, v12
	s_or_b64 vcc, s[0:1], vcc
	v_mul_f64 v[0:1], v[0:1], s[14:15]
	v_addc_co_u32_e32 v10, vcc, 0, v10, vcc
	v_cmp_gt_i32_e32 vcc, 31, v11
	v_cndmask_b32_e32 v10, v6, v10, vcc
	v_cmp_ne_u32_e32 vcc, 0, v4
	v_cndmask_b32_e64 v4, 0, 1, vcc
	v_lshl_or_b32 v4, v4, 9, v6
	v_cmp_eq_u32_e32 vcc, s16, v11
	v_and_or_b32 v0, v1, s18, v0
	v_cndmask_b32_e32 v4, v10, v4, vcc
	v_lshrrev_b32_e32 v5, 16, v5
	v_cmp_ne_u32_e32 vcc, 0, v0
	v_and_or_b32 v12, v5, s10, v4
	v_cndmask_b32_e64 v0, 0, 1, vcc
	v_lshrrev_b32_e32 v4, 8, v1
	v_bfe_u32 v5, v1, 20, 11
	v_and_or_b32 v0, v4, s17, v0
	v_sub_u32_e32 v10, 0x3f1, v5
	v_or_b32_e32 v4, 0x1000, v0
	v_med3_i32 v10, v10, 0, 13
	v_lshrrev_b32_e32 v11, v10, v4
	v_lshlrev_b32_e32 v10, v10, v11
	v_cmp_ne_u32_e32 vcc, v10, v4
	v_cndmask_b32_e64 v4, 0, 1, vcc
	v_add_u32_e32 v10, 0xfffffc10, v5
	v_or_b32_e32 v4, v11, v4
	v_lshl_or_b32 v5, v10, 12, v0
	v_cmp_gt_i32_e32 vcc, 1, v10
	v_cndmask_b32_e32 v4, v5, v4, vcc
	v_and_b32_e32 v5, 7, v4
	v_cmp_lt_i32_e32 vcc, 5, v5
	v_cmp_eq_u32_e64 s[0:1], 3, v5
	v_lshrrev_b32_e32 v4, 2, v4
	s_or_b64 vcc, s[0:1], vcc
	v_addc_co_u32_e32 v11, vcc, 0, v4, vcc
	ds_read2_b32 v[4:5], v34 offset0:105 offset1:140
	v_cmp_gt_i32_e32 vcc, 31, v10
	v_cndmask_b32_e32 v11, v6, v11, vcc
	v_cmp_ne_u32_e32 vcc, 0, v0
	v_cndmask_b32_e64 v0, 0, 1, vcc
	s_waitcnt lgkmcnt(0)
	v_lshrrev_b32_e32 v13, 16, v4
	s_waitcnt vmcnt(6)
	v_mul_f16_sdwa v18, v13, v14 dst_sel:DWORD dst_unused:UNUSED_PAD src0_sel:DWORD src1_sel:WORD_1
	v_fma_f16 v18, v4, v14, v18
	v_cvt_f32_f16_e32 v18, v18
	v_lshl_or_b32 v0, v0, 9, v6
	v_cmp_eq_u32_e32 vcc, s16, v10
	v_cndmask_b32_e32 v0, v11, v0, vcc
	v_cvt_f64_f32_e32 v[10:11], v18
	v_lshrrev_b32_e32 v1, 16, v1
	v_and_or_b32 v18, v1, s10, v0
	v_add_co_u32_e32 v2, vcc, s3, v2
	v_mul_f64 v[0:1], v[10:11], s[14:15]
	v_mov_b32_e32 v11, s2
	v_and_b32_e32 v12, 0xffff, v12
	v_addc_co_u32_e32 v3, vcc, v3, v11, vcc
	v_lshl_or_b32 v10, v18, 16, v12
	global_store_dword v[2:3], v10, off
	v_mul_f16_sdwa v4, v4, v14 dst_sel:DWORD dst_unused:UNUSED_PAD src0_sel:DWORD src1_sel:WORD_1
	v_and_or_b32 v0, v1, s18, v0
	v_cmp_ne_u32_e32 vcc, 0, v0
	v_cndmask_b32_e64 v0, 0, 1, vcc
	v_lshrrev_b32_e32 v10, 8, v1
	v_bfe_u32 v11, v1, 20, 11
	v_and_or_b32 v0, v10, s17, v0
	v_sub_u32_e32 v12, 0x3f1, v11
	v_or_b32_e32 v10, 0x1000, v0
	v_med3_i32 v12, v12, 0, 13
	v_lshrrev_b32_e32 v18, v12, v10
	v_lshlrev_b32_e32 v12, v12, v18
	v_cmp_ne_u32_e32 vcc, v12, v10
	v_fma_f16 v4, v14, v13, -v4
	v_cndmask_b32_e64 v10, 0, 1, vcc
	v_add_u32_e32 v12, 0xfffffc10, v11
	v_cvt_f32_f16_e32 v4, v4
	v_or_b32_e32 v10, v18, v10
	v_lshl_or_b32 v11, v12, 12, v0
	v_cmp_gt_i32_e32 vcc, 1, v12
	v_cndmask_b32_e32 v10, v11, v10, vcc
	v_and_b32_e32 v11, 7, v10
	v_cmp_lt_i32_e32 vcc, 5, v11
	v_cmp_eq_u32_e64 s[0:1], 3, v11
	v_lshrrev_b32_e32 v13, 2, v10
	v_cvt_f64_f32_e32 v[10:11], v4
	s_or_b64 vcc, s[0:1], vcc
	v_addc_co_u32_e32 v4, vcc, 0, v13, vcc
	v_mul_f64 v[10:11], v[10:11], s[14:15]
	v_cmp_gt_i32_e32 vcc, 31, v12
	v_cndmask_b32_e32 v4, v6, v4, vcc
	v_cmp_ne_u32_e32 vcc, 0, v0
	v_cndmask_b32_e64 v0, 0, 1, vcc
	v_lshl_or_b32 v0, v0, 9, v6
	v_cmp_eq_u32_e32 vcc, s16, v12
	v_cndmask_b32_e32 v0, v4, v0, vcc
	v_lshrrev_b32_e32 v1, 16, v1
	v_and_or_b32 v4, v1, s10, v0
	v_and_or_b32 v0, v11, s18, v10
	v_cmp_ne_u32_e32 vcc, 0, v0
	v_cndmask_b32_e64 v0, 0, 1, vcc
	v_lshrrev_b32_e32 v1, 8, v11
	v_bfe_u32 v10, v11, 20, 11
	v_and_or_b32 v0, v1, s17, v0
	v_sub_u32_e32 v12, 0x3f1, v10
	v_or_b32_e32 v1, 0x1000, v0
	v_med3_i32 v12, v12, 0, 13
	v_lshrrev_b32_e32 v13, v12, v1
	v_lshlrev_b32_e32 v12, v12, v13
	v_cmp_ne_u32_e32 vcc, v12, v1
	v_cndmask_b32_e64 v1, 0, 1, vcc
	v_add_u32_e32 v10, 0xfffffc10, v10
	v_or_b32_e32 v1, v13, v1
	v_lshl_or_b32 v12, v10, 12, v0
	v_cmp_gt_i32_e32 vcc, 1, v10
	v_cndmask_b32_e32 v1, v12, v1, vcc
	v_and_b32_e32 v12, 7, v1
	v_cmp_lt_i32_e32 vcc, 5, v12
	v_cmp_eq_u32_e64 s[0:1], 3, v12
	v_lshrrev_b32_e32 v12, 16, v5
	v_lshrrev_b32_e32 v1, 2, v1
	s_or_b64 vcc, s[0:1], vcc
	s_waitcnt vmcnt(6)
	v_mul_f16_sdwa v13, v12, v15 dst_sel:DWORD dst_unused:UNUSED_PAD src0_sel:DWORD src1_sel:WORD_1
	v_addc_co_u32_e32 v1, vcc, 0, v1, vcc
	v_fma_f16 v13, v5, v15, v13
	v_cmp_gt_i32_e32 vcc, 31, v10
	v_cvt_f32_f16_e32 v13, v13
	v_cndmask_b32_e32 v1, v6, v1, vcc
	v_cmp_ne_u32_e32 vcc, 0, v0
	v_cndmask_b32_e64 v0, 0, 1, vcc
	v_lshl_or_b32 v0, v0, 9, v6
	v_cmp_eq_u32_e32 vcc, s16, v10
	v_cndmask_b32_e32 v10, v1, v0, vcc
	v_cvt_f64_f32_e32 v[0:1], v13
	v_lshrrev_b32_e32 v11, 16, v11
	v_and_or_b32 v10, v11, s10, v10
	v_and_b32_e32 v4, 0xffff, v4
	v_mul_f64 v[0:1], v[0:1], s[14:15]
	v_lshl_or_b32 v4, v10, 16, v4
	v_mov_b32_e32 v10, s2
	v_add_co_u32_e32 v2, vcc, s3, v2
	v_addc_co_u32_e32 v3, vcc, v3, v10, vcc
	global_store_dword v[2:3], v4, off
	v_and_or_b32 v0, v1, s18, v0
	v_cmp_ne_u32_e32 vcc, 0, v0
	v_cndmask_b32_e64 v0, 0, 1, vcc
	v_lshrrev_b32_e32 v4, 8, v1
	v_bfe_u32 v10, v1, 20, 11
	v_and_or_b32 v0, v4, s17, v0
	v_sub_u32_e32 v11, 0x3f1, v10
	v_or_b32_e32 v4, 0x1000, v0
	v_med3_i32 v11, v11, 0, 13
	v_lshrrev_b32_e32 v13, v11, v4
	v_lshlrev_b32_e32 v11, v11, v13
	v_mul_f16_sdwa v5, v5, v15 dst_sel:DWORD dst_unused:UNUSED_PAD src0_sel:DWORD src1_sel:WORD_1
	v_cmp_ne_u32_e32 vcc, v11, v4
	v_fma_f16 v5, v15, v12, -v5
	v_cndmask_b32_e64 v4, 0, 1, vcc
	v_add_u32_e32 v10, 0xfffffc10, v10
	v_cvt_f32_f16_e32 v5, v5
	v_or_b32_e32 v4, v13, v4
	v_lshl_or_b32 v11, v10, 12, v0
	v_cmp_gt_i32_e32 vcc, 1, v10
	v_cndmask_b32_e32 v4, v11, v4, vcc
	v_and_b32_e32 v11, 7, v4
	v_cmp_lt_i32_e32 vcc, 5, v11
	v_cmp_eq_u32_e64 s[0:1], 3, v11
	v_lshrrev_b32_e32 v11, 2, v4
	v_cvt_f64_f32_e32 v[4:5], v5
	s_or_b64 vcc, s[0:1], vcc
	v_addc_co_u32_e32 v11, vcc, 0, v11, vcc
	v_mul_f64 v[4:5], v[4:5], s[14:15]
	v_cmp_gt_i32_e32 vcc, 31, v10
	v_cndmask_b32_e32 v11, v6, v11, vcc
	v_cmp_ne_u32_e32 vcc, 0, v0
	v_cndmask_b32_e64 v0, 0, 1, vcc
	v_lshl_or_b32 v0, v0, 9, v6
	v_cmp_eq_u32_e32 vcc, s16, v10
	v_cndmask_b32_e32 v0, v11, v0, vcc
	v_lshrrev_b32_e32 v1, 16, v1
	v_and_or_b32 v12, v1, s10, v0
	v_and_or_b32 v0, v5, s18, v4
	v_cmp_ne_u32_e32 vcc, 0, v0
	v_cndmask_b32_e64 v0, 0, 1, vcc
	v_lshrrev_b32_e32 v1, 8, v5
	v_and_or_b32 v4, v1, s17, v0
	v_bfe_u32 v1, v5, 20, 11
	v_sub_u32_e32 v10, 0x3f1, v1
	v_or_b32_e32 v0, 0x1000, v4
	v_med3_i32 v10, v10, 0, 13
	v_lshrrev_b32_e32 v11, v10, v0
	v_lshlrev_b32_e32 v10, v10, v11
	v_cmp_ne_u32_e32 vcc, v10, v0
	v_cndmask_b32_e64 v0, 0, 1, vcc
	v_add_u32_e32 v10, 0xfffffc10, v1
	v_or_b32_e32 v0, v11, v0
	v_lshl_or_b32 v1, v10, 12, v4
	v_cmp_gt_i32_e32 vcc, 1, v10
	v_cndmask_b32_e32 v0, v1, v0, vcc
	v_and_b32_e32 v1, 7, v0
	v_cmp_lt_i32_e32 vcc, 5, v1
	v_cmp_eq_u32_e64 s[0:1], 3, v1
	v_lshrrev_b32_e32 v0, 2, v0
	s_or_b64 vcc, s[0:1], vcc
	v_addc_co_u32_e32 v11, vcc, 0, v0, vcc
	ds_read2_b32 v[0:1], v34 offset0:175 offset1:210
	v_cmp_gt_i32_e32 vcc, 31, v10
	v_cndmask_b32_e32 v11, v6, v11, vcc
	v_cmp_ne_u32_e32 vcc, 0, v4
	v_cndmask_b32_e64 v4, 0, 1, vcc
	s_waitcnt lgkmcnt(0)
	v_lshrrev_b32_e32 v13, 16, v0
	s_waitcnt vmcnt(6)
	v_mul_f16_sdwa v14, v13, v16 dst_sel:DWORD dst_unused:UNUSED_PAD src0_sel:DWORD src1_sel:WORD_1
	v_fma_f16 v14, v0, v16, v14
	v_cvt_f32_f16_e32 v14, v14
	v_lshl_or_b32 v4, v4, 9, v6
	v_cmp_eq_u32_e32 vcc, s16, v10
	v_cndmask_b32_e32 v4, v11, v4, vcc
	v_cvt_f64_f32_e32 v[10:11], v14
	v_lshrrev_b32_e32 v5, 16, v5
	v_and_or_b32 v14, v5, s10, v4
	v_add_co_u32_e32 v2, vcc, s3, v2
	v_mul_f64 v[4:5], v[10:11], s[14:15]
	v_mov_b32_e32 v11, s2
	v_and_b32_e32 v12, 0xffff, v12
	v_addc_co_u32_e32 v3, vcc, v3, v11, vcc
	v_lshl_or_b32 v10, v14, 16, v12
	global_store_dword v[2:3], v10, off
	v_mul_f16_sdwa v0, v0, v16 dst_sel:DWORD dst_unused:UNUSED_PAD src0_sel:DWORD src1_sel:WORD_1
	v_and_or_b32 v4, v5, s18, v4
	v_cmp_ne_u32_e32 vcc, 0, v4
	v_cndmask_b32_e64 v4, 0, 1, vcc
	v_lshrrev_b32_e32 v10, 8, v5
	v_bfe_u32 v11, v5, 20, 11
	v_and_or_b32 v4, v10, s17, v4
	v_sub_u32_e32 v12, 0x3f1, v11
	v_or_b32_e32 v10, 0x1000, v4
	v_med3_i32 v12, v12, 0, 13
	v_lshrrev_b32_e32 v14, v12, v10
	v_lshlrev_b32_e32 v12, v12, v14
	v_cmp_ne_u32_e32 vcc, v12, v10
	v_fma_f16 v0, v16, v13, -v0
	v_cndmask_b32_e64 v10, 0, 1, vcc
	v_add_u32_e32 v12, 0xfffffc10, v11
	v_cvt_f32_f16_e32 v0, v0
	v_or_b32_e32 v10, v14, v10
	v_lshl_or_b32 v11, v12, 12, v4
	v_cmp_gt_i32_e32 vcc, 1, v12
	v_cndmask_b32_e32 v10, v11, v10, vcc
	v_and_b32_e32 v11, 7, v10
	v_cmp_lt_i32_e32 vcc, 5, v11
	v_cmp_eq_u32_e64 s[0:1], 3, v11
	v_lshrrev_b32_e32 v13, 2, v10
	v_cvt_f64_f32_e32 v[10:11], v0
	s_or_b64 vcc, s[0:1], vcc
	v_addc_co_u32_e32 v0, vcc, 0, v13, vcc
	v_mul_f64 v[10:11], v[10:11], s[14:15]
	v_cmp_gt_i32_e32 vcc, 31, v12
	v_cndmask_b32_e32 v0, v6, v0, vcc
	v_cmp_ne_u32_e32 vcc, 0, v4
	v_cndmask_b32_e64 v4, 0, 1, vcc
	v_lshl_or_b32 v4, v4, 9, v6
	v_cmp_eq_u32_e32 vcc, s16, v12
	v_cndmask_b32_e32 v0, v0, v4, vcc
	v_lshrrev_b32_e32 v4, 16, v5
	v_and_or_b32 v0, v4, s10, v0
	v_and_or_b32 v4, v11, s18, v10
	v_cmp_ne_u32_e32 vcc, 0, v4
	v_cndmask_b32_e64 v4, 0, 1, vcc
	v_lshrrev_b32_e32 v5, 8, v11
	v_bfe_u32 v10, v11, 20, 11
	v_and_or_b32 v4, v5, s17, v4
	v_sub_u32_e32 v12, 0x3f1, v10
	v_or_b32_e32 v5, 0x1000, v4
	v_med3_i32 v12, v12, 0, 13
	v_lshrrev_b32_e32 v13, v12, v5
	v_lshlrev_b32_e32 v12, v12, v13
	v_cmp_ne_u32_e32 vcc, v12, v5
	v_cndmask_b32_e64 v5, 0, 1, vcc
	v_add_u32_e32 v10, 0xfffffc10, v10
	v_or_b32_e32 v5, v13, v5
	v_lshl_or_b32 v12, v10, 12, v4
	v_cmp_gt_i32_e32 vcc, 1, v10
	v_cndmask_b32_e32 v5, v12, v5, vcc
	v_and_b32_e32 v12, 7, v5
	v_cmp_lt_i32_e32 vcc, 5, v12
	v_cmp_eq_u32_e64 s[0:1], 3, v12
	v_lshrrev_b32_e32 v12, 16, v1
	v_lshrrev_b32_e32 v5, 2, v5
	s_or_b64 vcc, s[0:1], vcc
	s_waitcnt vmcnt(6)
	v_mul_f16_sdwa v13, v12, v17 dst_sel:DWORD dst_unused:UNUSED_PAD src0_sel:DWORD src1_sel:WORD_1
	v_addc_co_u32_e32 v5, vcc, 0, v5, vcc
	v_fma_f16 v13, v1, v17, v13
	v_cmp_gt_i32_e32 vcc, 31, v10
	v_cvt_f32_f16_e32 v13, v13
	v_cndmask_b32_e32 v5, v6, v5, vcc
	v_cmp_ne_u32_e32 vcc, 0, v4
	v_cndmask_b32_e64 v4, 0, 1, vcc
	v_lshl_or_b32 v4, v4, 9, v6
	v_cmp_eq_u32_e32 vcc, s16, v10
	v_cndmask_b32_e32 v10, v5, v4, vcc
	v_cvt_f64_f32_e32 v[4:5], v13
	v_lshrrev_b32_e32 v11, 16, v11
	v_and_or_b32 v10, v11, s10, v10
	v_and_b32_e32 v0, 0xffff, v0
	v_mul_f64 v[4:5], v[4:5], s[14:15]
	v_lshl_or_b32 v0, v10, 16, v0
	v_mov_b32_e32 v10, s2
	v_add_co_u32_e32 v2, vcc, s3, v2
	v_addc_co_u32_e32 v3, vcc, v3, v10, vcc
	global_store_dword v[2:3], v0, off
	v_and_or_b32 v0, v5, s18, v4
	v_cmp_ne_u32_e32 vcc, 0, v0
	v_cndmask_b32_e64 v0, 0, 1, vcc
	v_lshrrev_b32_e32 v4, 8, v5
	v_bfe_u32 v10, v5, 20, 11
	v_and_or_b32 v4, v4, s17, v0
	v_sub_u32_e32 v11, 0x3f1, v10
	v_or_b32_e32 v0, 0x1000, v4
	v_med3_i32 v11, v11, 0, 13
	v_lshrrev_b32_e32 v13, v11, v0
	v_lshlrev_b32_e32 v11, v11, v13
	v_mul_f16_sdwa v1, v1, v17 dst_sel:DWORD dst_unused:UNUSED_PAD src0_sel:DWORD src1_sel:WORD_1
	v_cmp_ne_u32_e32 vcc, v11, v0
	v_fma_f16 v1, v17, v12, -v1
	v_cndmask_b32_e64 v0, 0, 1, vcc
	v_add_u32_e32 v10, 0xfffffc10, v10
	v_cvt_f32_f16_e32 v1, v1
	v_or_b32_e32 v0, v13, v0
	v_lshl_or_b32 v11, v10, 12, v4
	v_cmp_gt_i32_e32 vcc, 1, v10
	v_cndmask_b32_e32 v0, v11, v0, vcc
	v_and_b32_e32 v11, 7, v0
	v_cmp_lt_i32_e32 vcc, 5, v11
	v_cmp_eq_u32_e64 s[0:1], 3, v11
	v_lshrrev_b32_e32 v11, 2, v0
	v_cvt_f64_f32_e32 v[0:1], v1
	s_or_b64 vcc, s[0:1], vcc
	v_addc_co_u32_e32 v11, vcc, 0, v11, vcc
	v_mul_f64 v[0:1], v[0:1], s[14:15]
	v_cmp_gt_i32_e32 vcc, 31, v10
	v_cndmask_b32_e32 v11, v6, v11, vcc
	v_cmp_ne_u32_e32 vcc, 0, v4
	v_cndmask_b32_e64 v4, 0, 1, vcc
	v_lshl_or_b32 v4, v4, 9, v6
	v_cmp_eq_u32_e32 vcc, s16, v10
	v_cndmask_b32_e32 v4, v11, v4, vcc
	v_and_or_b32 v0, v1, s18, v0
	v_lshrrev_b32_e32 v5, 16, v5
	v_cmp_ne_u32_e32 vcc, 0, v0
	v_and_or_b32 v12, v5, s10, v4
	v_cndmask_b32_e64 v0, 0, 1, vcc
	v_lshrrev_b32_e32 v4, 8, v1
	v_bfe_u32 v5, v1, 20, 11
	v_and_or_b32 v0, v4, s17, v0
	v_sub_u32_e32 v10, 0x3f1, v5
	v_or_b32_e32 v4, 0x1000, v0
	v_med3_i32 v10, v10, 0, 13
	v_lshrrev_b32_e32 v11, v10, v4
	v_lshlrev_b32_e32 v10, v10, v11
	v_cmp_ne_u32_e32 vcc, v10, v4
	v_cndmask_b32_e64 v4, 0, 1, vcc
	v_add_u32_e32 v10, 0xfffffc10, v5
	v_or_b32_e32 v4, v11, v4
	v_lshl_or_b32 v5, v10, 12, v0
	v_cmp_gt_i32_e32 vcc, 1, v10
	v_cndmask_b32_e32 v4, v5, v4, vcc
	v_and_b32_e32 v5, 7, v4
	v_cmp_lt_i32_e32 vcc, 5, v5
	v_cmp_eq_u32_e64 s[0:1], 3, v5
	v_lshrrev_b32_e32 v4, 2, v4
	s_or_b64 vcc, s[0:1], vcc
	v_addc_co_u32_e32 v11, vcc, 0, v4, vcc
	ds_read2_b32 v[4:5], v8 offset0:117 offset1:152
	v_cmp_gt_i32_e32 vcc, 31, v10
	v_cndmask_b32_e32 v8, v6, v11, vcc
	v_cmp_ne_u32_e32 vcc, 0, v0
	v_cndmask_b32_e64 v0, 0, 1, vcc
	s_waitcnt lgkmcnt(0)
	v_lshrrev_b32_e32 v13, 16, v4
	s_waitcnt vmcnt(6)
	v_mul_f16_sdwa v11, v13, v9 dst_sel:DWORD dst_unused:UNUSED_PAD src0_sel:DWORD src1_sel:WORD_1
	v_fma_f16 v11, v4, v9, v11
	v_cvt_f32_f16_e32 v11, v11
	v_cmp_eq_u32_e32 vcc, s16, v10
	v_lshl_or_b32 v0, v0, 9, v6
	v_cndmask_b32_e32 v0, v8, v0, vcc
	v_cvt_f64_f32_e32 v[10:11], v11
	v_lshrrev_b32_e32 v1, 16, v1
	v_and_or_b32 v8, v1, s10, v0
	v_add_co_u32_e32 v2, vcc, s3, v2
	v_mul_f64 v[0:1], v[10:11], s[14:15]
	global_load_dword v10, v31, s[6:7] offset:1120
	v_mov_b32_e32 v11, s2
	v_and_b32_e32 v12, 0xffff, v12
	v_addc_co_u32_e32 v3, vcc, v3, v11, vcc
	v_lshl_or_b32 v8, v8, 16, v12
	global_store_dword v[2:3], v8, off
	v_and_or_b32 v0, v1, s18, v0
	v_cmp_ne_u32_e32 vcc, 0, v0
	v_cndmask_b32_e64 v0, 0, 1, vcc
	v_lshrrev_b32_e32 v8, 8, v1
	v_bfe_u32 v11, v1, 20, 11
	v_and_or_b32 v0, v8, s17, v0
	v_sub_u32_e32 v12, 0x3f1, v11
	v_or_b32_e32 v8, 0x1000, v0
	v_med3_i32 v12, v12, 0, 13
	v_lshrrev_b32_e32 v14, v12, v8
	v_lshlrev_b32_e32 v12, v12, v14
	v_mul_f16_sdwa v4, v4, v9 dst_sel:DWORD dst_unused:UNUSED_PAD src0_sel:DWORD src1_sel:WORD_1
	v_cmp_ne_u32_e32 vcc, v12, v8
	v_fma_f16 v4, v9, v13, -v4
	v_cndmask_b32_e64 v8, 0, 1, vcc
	v_add_u32_e32 v11, 0xfffffc10, v11
	v_cvt_f32_f16_e32 v4, v4
	v_or_b32_e32 v8, v14, v8
	v_lshl_or_b32 v12, v11, 12, v0
	v_cmp_gt_i32_e32 vcc, 1, v11
	v_cndmask_b32_e32 v8, v12, v8, vcc
	v_and_b32_e32 v12, 7, v8
	v_cmp_lt_i32_e32 vcc, 5, v12
	v_cmp_eq_u32_e64 s[0:1], 3, v12
	v_lshrrev_b32_e32 v12, 2, v8
	v_cvt_f64_f32_e32 v[8:9], v4
	s_or_b64 vcc, s[0:1], vcc
	v_addc_co_u32_e32 v4, vcc, 0, v12, vcc
	v_mul_f64 v[8:9], v[8:9], s[14:15]
	v_cmp_gt_i32_e32 vcc, 31, v11
	v_cndmask_b32_e32 v4, v6, v4, vcc
	v_cmp_ne_u32_e32 vcc, 0, v0
	v_cndmask_b32_e64 v0, 0, 1, vcc
	v_lshl_or_b32 v0, v0, 9, v6
	v_cmp_eq_u32_e32 vcc, s16, v11
	v_cndmask_b32_e32 v0, v4, v0, vcc
	v_lshrrev_b32_e32 v1, 16, v1
	v_and_or_b32 v4, v1, s10, v0
	v_and_or_b32 v0, v9, s18, v8
	v_cmp_ne_u32_e32 vcc, 0, v0
	v_cndmask_b32_e64 v0, 0, 1, vcc
	v_lshrrev_b32_e32 v1, 8, v9
	v_bfe_u32 v8, v9, 20, 11
	v_and_or_b32 v0, v1, s17, v0
	v_sub_u32_e32 v11, 0x3f1, v8
	v_or_b32_e32 v1, 0x1000, v0
	v_med3_i32 v11, v11, 0, 13
	v_lshrrev_b32_e32 v12, v11, v1
	v_lshlrev_b32_e32 v11, v11, v12
	v_cmp_ne_u32_e32 vcc, v11, v1
	v_cndmask_b32_e64 v1, 0, 1, vcc
	v_or_b32_e32 v1, v12, v1
	global_load_dword v12, v31, s[6:7] offset:1260
	global_load_dword v13, v31, s[6:7] offset:1400
	;; [unrolled: 1-line block ×3, first 2 shown]
	v_add_u32_e32 v8, 0xfffffc10, v8
	v_lshl_or_b32 v11, v8, 12, v0
	v_cmp_gt_i32_e32 vcc, 1, v8
	v_cndmask_b32_e32 v1, v11, v1, vcc
	v_and_b32_e32 v11, 7, v1
	v_cmp_lt_i32_e32 vcc, 5, v11
	v_cmp_eq_u32_e64 s[0:1], 3, v11
	v_lshrrev_b32_e32 v11, 16, v5
	v_lshrrev_b32_e32 v1, 2, v1
	s_or_b64 vcc, s[0:1], vcc
	v_addc_co_u32_e32 v1, vcc, 0, v1, vcc
	v_cmp_gt_i32_e32 vcc, 31, v8
	v_cndmask_b32_e32 v1, v6, v1, vcc
	v_cmp_ne_u32_e32 vcc, 0, v0
	v_cndmask_b32_e64 v0, 0, 1, vcc
	v_lshl_or_b32 v0, v0, 9, v6
	v_cmp_eq_u32_e32 vcc, s16, v8
	v_cndmask_b32_e32 v8, v1, v0, vcc
	s_waitcnt vmcnt(4)
	v_mul_f16_sdwa v15, v11, v10 dst_sel:DWORD dst_unused:UNUSED_PAD src0_sel:DWORD src1_sel:WORD_1
	v_fma_f16 v15, v5, v10, v15
	v_cvt_f32_f16_e32 v15, v15
	v_lshrrev_b32_e32 v9, 16, v9
	v_and_or_b32 v8, v9, s10, v8
	v_and_b32_e32 v4, 0xffff, v4
	v_cvt_f64_f32_e32 v[0:1], v15
	v_lshl_or_b32 v4, v8, 16, v4
	v_mov_b32_e32 v8, s2
	v_add_co_u32_e32 v2, vcc, s3, v2
	v_mul_f64 v[0:1], v[0:1], s[14:15]
	v_addc_co_u32_e32 v3, vcc, v3, v8, vcc
	global_store_dword v[2:3], v4, off
	v_mul_f16_sdwa v5, v5, v10 dst_sel:DWORD dst_unused:UNUSED_PAD src0_sel:DWORD src1_sel:WORD_1
	v_fma_f16 v5, v10, v11, -v5
	v_cvt_f32_f16_e32 v5, v5
	v_and_or_b32 v0, v1, s18, v0
	v_cmp_ne_u32_e32 vcc, 0, v0
	v_cndmask_b32_e64 v0, 0, 1, vcc
	v_lshrrev_b32_e32 v4, 8, v1
	v_bfe_u32 v8, v1, 20, 11
	v_and_or_b32 v0, v4, s17, v0
	v_sub_u32_e32 v9, 0x3f1, v8
	v_or_b32_e32 v4, 0x1000, v0
	v_med3_i32 v9, v9, 0, 13
	v_lshrrev_b32_e32 v15, v9, v4
	v_lshlrev_b32_e32 v9, v9, v15
	v_cmp_ne_u32_e32 vcc, v9, v4
	v_cndmask_b32_e64 v4, 0, 1, vcc
	v_add_u32_e32 v8, 0xfffffc10, v8
	v_or_b32_e32 v4, v15, v4
	v_lshl_or_b32 v9, v8, 12, v0
	v_cmp_gt_i32_e32 vcc, 1, v8
	v_cndmask_b32_e32 v4, v9, v4, vcc
	v_and_b32_e32 v9, 7, v4
	v_cmp_lt_i32_e32 vcc, 5, v9
	v_cmp_eq_u32_e64 s[0:1], 3, v9
	v_lshrrev_b32_e32 v9, 2, v4
	v_cvt_f64_f32_e32 v[4:5], v5
	s_or_b64 vcc, s[0:1], vcc
	v_addc_co_u32_e32 v9, vcc, 0, v9, vcc
	v_mul_f64 v[4:5], v[4:5], s[14:15]
	v_cmp_gt_i32_e32 vcc, 31, v8
	v_cndmask_b32_e32 v9, v6, v9, vcc
	v_cmp_ne_u32_e32 vcc, 0, v0
	v_cndmask_b32_e64 v0, 0, 1, vcc
	v_lshl_or_b32 v0, v0, 9, v6
	v_cmp_eq_u32_e32 vcc, s16, v8
	v_cndmask_b32_e32 v0, v9, v0, vcc
	v_lshrrev_b32_e32 v1, 16, v1
	v_and_or_b32 v10, v1, s10, v0
	v_and_or_b32 v0, v5, s18, v4
	v_cmp_ne_u32_e32 vcc, 0, v0
	v_cndmask_b32_e64 v0, 0, 1, vcc
	v_lshrrev_b32_e32 v1, 8, v5
	v_and_or_b32 v4, v1, s17, v0
	v_bfe_u32 v1, v5, 20, 11
	v_sub_u32_e32 v8, 0x3f1, v1
	v_or_b32_e32 v0, 0x1000, v4
	v_med3_i32 v8, v8, 0, 13
	v_lshrrev_b32_e32 v9, v8, v0
	v_lshlrev_b32_e32 v8, v8, v9
	v_cmp_ne_u32_e32 vcc, v8, v0
	v_cndmask_b32_e64 v0, 0, 1, vcc
	v_add_u32_e32 v8, 0xfffffc10, v1
	v_or_b32_e32 v0, v9, v0
	v_lshl_or_b32 v1, v8, 12, v4
	v_cmp_gt_i32_e32 vcc, 1, v8
	v_cndmask_b32_e32 v0, v1, v0, vcc
	v_and_b32_e32 v1, 7, v0
	v_cmp_lt_i32_e32 vcc, 5, v1
	v_cmp_eq_u32_e64 s[0:1], 3, v1
	v_lshrrev_b32_e32 v0, 2, v0
	s_or_b64 vcc, s[0:1], vcc
	v_addc_co_u32_e32 v9, vcc, 0, v0, vcc
	ds_read2_b32 v[0:1], v7 offset0:59 offset1:94
	v_cmp_gt_i32_e32 vcc, 31, v8
	v_cndmask_b32_e32 v9, v6, v9, vcc
	v_cmp_ne_u32_e32 vcc, 0, v4
	v_cndmask_b32_e64 v4, 0, 1, vcc
	s_waitcnt lgkmcnt(0)
	v_lshrrev_b32_e32 v11, 16, v0
	s_waitcnt vmcnt(3)
	v_mul_f16_sdwa v15, v11, v12 dst_sel:DWORD dst_unused:UNUSED_PAD src0_sel:DWORD src1_sel:WORD_1
	v_fma_f16 v15, v0, v12, v15
	v_cvt_f32_f16_e32 v15, v15
	v_lshl_or_b32 v4, v4, 9, v6
	v_cmp_eq_u32_e32 vcc, s16, v8
	v_cndmask_b32_e32 v4, v9, v4, vcc
	v_cvt_f64_f32_e32 v[8:9], v15
	v_lshrrev_b32_e32 v5, 16, v5
	v_and_or_b32 v15, v5, s10, v4
	v_add_co_u32_e32 v2, vcc, s3, v2
	v_mul_f64 v[4:5], v[8:9], s[14:15]
	v_mov_b32_e32 v9, s2
	v_and_b32_e32 v10, 0xffff, v10
	v_addc_co_u32_e32 v3, vcc, v3, v9, vcc
	v_lshl_or_b32 v8, v15, 16, v10
	global_store_dword v[2:3], v8, off
	v_mul_f16_sdwa v0, v0, v12 dst_sel:DWORD dst_unused:UNUSED_PAD src0_sel:DWORD src1_sel:WORD_1
	v_and_or_b32 v4, v5, s18, v4
	v_cmp_ne_u32_e32 vcc, 0, v4
	v_cndmask_b32_e64 v4, 0, 1, vcc
	v_lshrrev_b32_e32 v8, 8, v5
	v_bfe_u32 v9, v5, 20, 11
	v_and_or_b32 v4, v8, s17, v4
	v_sub_u32_e32 v10, 0x3f1, v9
	v_or_b32_e32 v8, 0x1000, v4
	v_med3_i32 v10, v10, 0, 13
	v_lshrrev_b32_e32 v15, v10, v8
	v_lshlrev_b32_e32 v10, v10, v15
	v_cmp_ne_u32_e32 vcc, v10, v8
	v_fma_f16 v0, v12, v11, -v0
	v_cndmask_b32_e64 v8, 0, 1, vcc
	v_add_u32_e32 v10, 0xfffffc10, v9
	v_cvt_f32_f16_e32 v0, v0
	v_or_b32_e32 v8, v15, v8
	v_lshl_or_b32 v9, v10, 12, v4
	v_cmp_gt_i32_e32 vcc, 1, v10
	v_cndmask_b32_e32 v8, v9, v8, vcc
	v_and_b32_e32 v9, 7, v8
	v_cmp_lt_i32_e32 vcc, 5, v9
	v_cmp_eq_u32_e64 s[0:1], 3, v9
	v_lshrrev_b32_e32 v11, 2, v8
	v_cvt_f64_f32_e32 v[8:9], v0
	s_or_b64 vcc, s[0:1], vcc
	v_addc_co_u32_e32 v0, vcc, 0, v11, vcc
	v_mul_f64 v[8:9], v[8:9], s[14:15]
	v_cmp_gt_i32_e32 vcc, 31, v10
	v_cndmask_b32_e32 v0, v6, v0, vcc
	v_cmp_ne_u32_e32 vcc, 0, v4
	v_cndmask_b32_e64 v4, 0, 1, vcc
	v_lshl_or_b32 v4, v4, 9, v6
	v_cmp_eq_u32_e32 vcc, s16, v10
	v_cndmask_b32_e32 v0, v0, v4, vcc
	v_lshrrev_b32_e32 v4, 16, v5
	v_and_or_b32 v0, v4, s10, v0
	v_and_or_b32 v4, v9, s18, v8
	v_cmp_ne_u32_e32 vcc, 0, v4
	v_cndmask_b32_e64 v4, 0, 1, vcc
	v_lshrrev_b32_e32 v5, 8, v9
	v_bfe_u32 v8, v9, 20, 11
	v_and_or_b32 v4, v5, s17, v4
	v_sub_u32_e32 v10, 0x3f1, v8
	v_or_b32_e32 v5, 0x1000, v4
	v_med3_i32 v10, v10, 0, 13
	v_lshrrev_b32_e32 v11, v10, v5
	v_lshlrev_b32_e32 v10, v10, v11
	v_cmp_ne_u32_e32 vcc, v10, v5
	v_cndmask_b32_e64 v5, 0, 1, vcc
	v_add_u32_e32 v8, 0xfffffc10, v8
	v_or_b32_e32 v5, v11, v5
	v_lshl_or_b32 v10, v8, 12, v4
	v_cmp_gt_i32_e32 vcc, 1, v8
	v_cndmask_b32_e32 v5, v10, v5, vcc
	v_and_b32_e32 v10, 7, v5
	v_cmp_lt_i32_e32 vcc, 5, v10
	v_cmp_eq_u32_e64 s[0:1], 3, v10
	v_lshrrev_b32_e32 v10, 16, v1
	v_lshrrev_b32_e32 v5, 2, v5
	s_or_b64 vcc, s[0:1], vcc
	s_waitcnt vmcnt(3)
	v_mul_f16_sdwa v11, v10, v13 dst_sel:DWORD dst_unused:UNUSED_PAD src0_sel:DWORD src1_sel:WORD_1
	v_addc_co_u32_e32 v5, vcc, 0, v5, vcc
	v_fma_f16 v11, v1, v13, v11
	v_cmp_gt_i32_e32 vcc, 31, v8
	v_cvt_f32_f16_e32 v11, v11
	v_cndmask_b32_e32 v5, v6, v5, vcc
	v_cmp_ne_u32_e32 vcc, 0, v4
	v_cndmask_b32_e64 v4, 0, 1, vcc
	v_lshl_or_b32 v4, v4, 9, v6
	v_cmp_eq_u32_e32 vcc, s16, v8
	v_cndmask_b32_e32 v8, v5, v4, vcc
	v_cvt_f64_f32_e32 v[4:5], v11
	v_lshrrev_b32_e32 v9, 16, v9
	v_and_or_b32 v8, v9, s10, v8
	v_and_b32_e32 v0, 0xffff, v0
	v_mul_f64 v[4:5], v[4:5], s[14:15]
	v_lshl_or_b32 v0, v8, 16, v0
	v_mov_b32_e32 v8, s2
	v_add_co_u32_e32 v2, vcc, s3, v2
	v_addc_co_u32_e32 v3, vcc, v3, v8, vcc
	global_store_dword v[2:3], v0, off
	v_and_or_b32 v0, v5, s18, v4
	v_cmp_ne_u32_e32 vcc, 0, v0
	v_cndmask_b32_e64 v0, 0, 1, vcc
	v_lshrrev_b32_e32 v4, 8, v5
	v_bfe_u32 v8, v5, 20, 11
	v_and_or_b32 v4, v4, s17, v0
	v_sub_u32_e32 v9, 0x3f1, v8
	v_or_b32_e32 v0, 0x1000, v4
	v_med3_i32 v9, v9, 0, 13
	v_lshrrev_b32_e32 v11, v9, v0
	v_lshlrev_b32_e32 v9, v9, v11
	v_mul_f16_sdwa v1, v1, v13 dst_sel:DWORD dst_unused:UNUSED_PAD src0_sel:DWORD src1_sel:WORD_1
	v_cmp_ne_u32_e32 vcc, v9, v0
	v_fma_f16 v1, v13, v10, -v1
	v_cndmask_b32_e64 v0, 0, 1, vcc
	v_add_u32_e32 v8, 0xfffffc10, v8
	v_cvt_f32_f16_e32 v1, v1
	v_or_b32_e32 v0, v11, v0
	v_lshl_or_b32 v9, v8, 12, v4
	v_cmp_gt_i32_e32 vcc, 1, v8
	v_cndmask_b32_e32 v0, v9, v0, vcc
	v_and_b32_e32 v9, 7, v0
	v_cmp_lt_i32_e32 vcc, 5, v9
	v_cmp_eq_u32_e64 s[0:1], 3, v9
	v_lshrrev_b32_e32 v9, 2, v0
	v_cvt_f64_f32_e32 v[0:1], v1
	s_or_b64 vcc, s[0:1], vcc
	v_addc_co_u32_e32 v9, vcc, 0, v9, vcc
	v_mul_f64 v[0:1], v[0:1], s[14:15]
	v_cmp_gt_i32_e32 vcc, 31, v8
	v_cndmask_b32_e32 v9, v6, v9, vcc
	v_cmp_ne_u32_e32 vcc, 0, v4
	v_cndmask_b32_e64 v4, 0, 1, vcc
	v_lshl_or_b32 v4, v4, 9, v6
	v_cmp_eq_u32_e32 vcc, s16, v8
	v_cndmask_b32_e32 v4, v9, v4, vcc
	v_and_or_b32 v0, v1, s18, v0
	v_lshrrev_b32_e32 v5, 16, v5
	v_cmp_ne_u32_e32 vcc, 0, v0
	v_and_or_b32 v9, v5, s10, v4
	v_cndmask_b32_e64 v0, 0, 1, vcc
	v_lshrrev_b32_e32 v4, 8, v1
	v_bfe_u32 v5, v1, 20, 11
	v_and_or_b32 v0, v4, s17, v0
	v_sub_u32_e32 v8, 0x3f1, v5
	v_or_b32_e32 v4, 0x1000, v0
	v_med3_i32 v8, v8, 0, 13
	v_lshrrev_b32_e32 v10, v8, v4
	v_lshlrev_b32_e32 v8, v8, v10
	v_cmp_ne_u32_e32 vcc, v8, v4
	v_cndmask_b32_e64 v4, 0, 1, vcc
	v_add_u32_e32 v8, 0xfffffc10, v5
	v_or_b32_e32 v4, v10, v4
	v_lshl_or_b32 v5, v8, 12, v0
	v_cmp_gt_i32_e32 vcc, 1, v8
	v_cndmask_b32_e32 v4, v5, v4, vcc
	v_and_b32_e32 v5, 7, v4
	v_cmp_lt_i32_e32 vcc, 5, v5
	v_cmp_eq_u32_e64 s[0:1], 3, v5
	v_lshrrev_b32_e32 v4, 2, v4
	s_or_b64 vcc, s[0:1], vcc
	v_addc_co_u32_e32 v10, vcc, 0, v4, vcc
	ds_read2_b32 v[4:5], v7 offset0:129 offset1:164
	v_cmp_gt_i32_e32 vcc, 31, v8
	v_cndmask_b32_e32 v7, v6, v10, vcc
	v_cmp_ne_u32_e32 vcc, 0, v0
	v_cndmask_b32_e64 v0, 0, 1, vcc
	s_waitcnt lgkmcnt(0)
	v_lshrrev_b32_e32 v10, 16, v4
	s_waitcnt vmcnt(3)
	v_mul_f16_sdwa v11, v10, v14 dst_sel:DWORD dst_unused:UNUSED_PAD src0_sel:DWORD src1_sel:WORD_1
	v_fma_f16 v11, v4, v14, v11
	v_cvt_f32_f16_e32 v11, v11
	v_lshl_or_b32 v0, v0, 9, v6
	v_cmp_eq_u32_e32 vcc, s16, v8
	v_cndmask_b32_e32 v0, v7, v0, vcc
	v_cvt_f64_f32_e32 v[7:8], v11
	v_lshrrev_b32_e32 v1, 16, v1
	v_and_or_b32 v11, v1, s10, v0
	v_add_co_u32_e32 v2, vcc, s3, v2
	v_mul_f64 v[0:1], v[7:8], s[14:15]
	v_mov_b32_e32 v8, s2
	v_and_b32_e32 v9, 0xffff, v9
	v_addc_co_u32_e32 v3, vcc, v3, v8, vcc
	v_lshl_or_b32 v7, v11, 16, v9
	global_store_dword v[2:3], v7, off
	v_mul_f16_sdwa v4, v4, v14 dst_sel:DWORD dst_unused:UNUSED_PAD src0_sel:DWORD src1_sel:WORD_1
	v_and_or_b32 v0, v1, s18, v0
	v_cmp_ne_u32_e32 vcc, 0, v0
	v_cndmask_b32_e64 v0, 0, 1, vcc
	v_lshrrev_b32_e32 v7, 8, v1
	v_bfe_u32 v8, v1, 20, 11
	v_and_or_b32 v0, v7, s17, v0
	v_sub_u32_e32 v9, 0x3f1, v8
	v_or_b32_e32 v7, 0x1000, v0
	v_med3_i32 v9, v9, 0, 13
	v_lshrrev_b32_e32 v11, v9, v7
	v_lshlrev_b32_e32 v9, v9, v11
	v_cmp_ne_u32_e32 vcc, v9, v7
	v_fma_f16 v4, v14, v10, -v4
	v_cndmask_b32_e64 v7, 0, 1, vcc
	v_add_u32_e32 v9, 0xfffffc10, v8
	v_cvt_f32_f16_e32 v4, v4
	v_or_b32_e32 v7, v11, v7
	v_lshl_or_b32 v8, v9, 12, v0
	v_cmp_gt_i32_e32 vcc, 1, v9
	v_cndmask_b32_e32 v7, v8, v7, vcc
	v_and_b32_e32 v8, 7, v7
	v_cmp_lt_i32_e32 vcc, 5, v8
	v_cmp_eq_u32_e64 s[0:1], 3, v8
	v_lshrrev_b32_e32 v10, 2, v7
	v_cvt_f64_f32_e32 v[7:8], v4
	s_or_b64 vcc, s[0:1], vcc
	v_addc_co_u32_e32 v4, vcc, 0, v10, vcc
	v_mul_f64 v[7:8], v[7:8], s[14:15]
	v_cmp_gt_i32_e32 vcc, 31, v9
	v_cndmask_b32_e32 v4, v6, v4, vcc
	v_cmp_ne_u32_e32 vcc, 0, v0
	v_cndmask_b32_e64 v0, 0, 1, vcc
	v_lshl_or_b32 v0, v0, 9, v6
	v_cmp_eq_u32_e32 vcc, s16, v9
	v_cndmask_b32_e32 v0, v4, v0, vcc
	v_lshrrev_b32_e32 v1, 16, v1
	v_and_or_b32 v0, v1, s10, v0
	v_and_or_b32 v1, v8, s18, v7
	v_cmp_ne_u32_e32 vcc, 0, v1
	v_cndmask_b32_e64 v1, 0, 1, vcc
	v_lshrrev_b32_e32 v4, 8, v8
	v_bfe_u32 v7, v8, 20, 11
	v_and_or_b32 v1, v4, s17, v1
	v_sub_u32_e32 v9, 0x3f1, v7
	v_or_b32_e32 v4, 0x1000, v1
	v_med3_i32 v9, v9, 0, 13
	v_lshrrev_b32_e32 v10, v9, v4
	v_lshlrev_b32_e32 v9, v9, v10
	v_cmp_ne_u32_e32 vcc, v9, v4
	v_cndmask_b32_e64 v4, 0, 1, vcc
	v_add_u32_e32 v7, 0xfffffc10, v7
	v_or_b32_e32 v4, v10, v4
	v_lshl_or_b32 v9, v7, 12, v1
	v_cmp_gt_i32_e32 vcc, 1, v7
	v_cndmask_b32_e32 v4, v9, v4, vcc
	v_and_b32_e32 v9, 7, v4
	v_cmp_lt_i32_e32 vcc, 5, v9
	v_cmp_eq_u32_e64 s[0:1], 3, v9
	v_lshrrev_b32_e32 v4, 2, v4
	s_or_b64 vcc, s[0:1], vcc
	v_addc_co_u32_e32 v4, vcc, 0, v4, vcc
	v_cmp_gt_i32_e32 vcc, 31, v7
	v_cndmask_b32_e32 v4, v6, v4, vcc
	v_cmp_ne_u32_e32 vcc, 0, v1
	v_cndmask_b32_e64 v1, 0, 1, vcc
	v_lshl_or_b32 v1, v1, 9, v6
	v_cmp_eq_u32_e32 vcc, s16, v7
	v_cndmask_b32_e32 v1, v4, v1, vcc
	v_lshrrev_b32_e32 v4, 16, v8
	v_and_or_b32 v1, v4, s10, v1
	v_and_b32_e32 v0, 0xffff, v0
	v_lshl_or_b32 v4, v1, 16, v0
	v_mov_b32_e32 v1, s2
	v_add_co_u32_e32 v0, vcc, s3, v2
	v_addc_co_u32_e32 v1, vcc, v3, v1, vcc
	global_store_dword v[0:1], v4, off
	global_load_dword v4, v31, s[6:7] offset:1680
	v_lshrrev_b32_e32 v7, 16, v5
	s_waitcnt vmcnt(0)
	v_mul_f16_sdwa v2, v7, v4 dst_sel:DWORD dst_unused:UNUSED_PAD src0_sel:DWORD src1_sel:WORD_1
	v_fma_f16 v2, v5, v4, v2
	v_cvt_f32_f16_e32 v2, v2
	v_mul_f16_sdwa v5, v5, v4 dst_sel:DWORD dst_unused:UNUSED_PAD src0_sel:DWORD src1_sel:WORD_1
	v_fma_f16 v4, v4, v7, -v5
	v_cvt_f32_f16_e32 v4, v4
	v_cvt_f64_f32_e32 v[2:3], v2
	v_cvt_f64_f32_e32 v[4:5], v4
	v_mul_f64 v[2:3], v[2:3], s[14:15]
	v_mul_f64 v[4:5], v[4:5], s[14:15]
	v_and_or_b32 v2, v3, s18, v2
	v_cmp_ne_u32_e32 vcc, 0, v2
	v_cndmask_b32_e64 v2, 0, 1, vcc
	v_lshrrev_b32_e32 v8, 8, v3
	v_bfe_u32 v9, v3, 20, 11
	v_and_or_b32 v2, v8, s17, v2
	v_sub_u32_e32 v10, 0x3f1, v9
	v_or_b32_e32 v8, 0x1000, v2
	v_med3_i32 v10, v10, 0, 13
	v_lshrrev_b32_e32 v11, v10, v8
	v_lshlrev_b32_e32 v10, v10, v11
	v_cmp_ne_u32_e32 vcc, v10, v8
	v_cndmask_b32_e64 v8, 0, 1, vcc
	v_add_u32_e32 v9, 0xfffffc10, v9
	v_or_b32_e32 v8, v11, v8
	v_lshl_or_b32 v10, v9, 12, v2
	v_cmp_gt_i32_e32 vcc, 1, v9
	v_cndmask_b32_e32 v8, v10, v8, vcc
	v_and_b32_e32 v10, 7, v8
	v_cmp_lt_i32_e32 vcc, 5, v10
	v_cmp_eq_u32_e64 s[0:1], 3, v10
	v_lshrrev_b32_e32 v7, 2, v8
	s_or_b64 vcc, s[0:1], vcc
	v_addc_co_u32_e32 v7, vcc, 0, v7, vcc
	v_cmp_gt_i32_e32 vcc, 31, v9
	v_cndmask_b32_e32 v7, v6, v7, vcc
	v_cmp_ne_u32_e32 vcc, 0, v2
	v_cndmask_b32_e64 v2, 0, 1, vcc
	v_lshl_or_b32 v2, v2, 9, v6
	v_cmp_eq_u32_e32 vcc, s16, v9
	v_cndmask_b32_e32 v2, v7, v2, vcc
	v_lshrrev_b32_e32 v3, 16, v3
	v_and_or_b32 v2, v3, s10, v2
	v_and_or_b32 v3, v5, s18, v4
	v_cmp_ne_u32_e32 vcc, 0, v3
	v_cndmask_b32_e64 v3, 0, 1, vcc
	v_lshrrev_b32_e32 v4, 8, v5
	v_bfe_u32 v7, v5, 20, 11
	v_and_or_b32 v3, v4, s17, v3
	v_sub_u32_e32 v8, 0x3f1, v7
	v_or_b32_e32 v4, 0x1000, v3
	v_med3_i32 v8, v8, 0, 13
	v_lshrrev_b32_e32 v9, v8, v4
	v_lshlrev_b32_e32 v8, v8, v9
	v_cmp_ne_u32_e32 vcc, v8, v4
	v_cndmask_b32_e64 v4, 0, 1, vcc
	v_add_u32_e32 v7, 0xfffffc10, v7
	v_or_b32_e32 v4, v9, v4
	v_lshl_or_b32 v8, v7, 12, v3
	v_cmp_gt_i32_e32 vcc, 1, v7
	v_cndmask_b32_e32 v4, v8, v4, vcc
	v_and_b32_e32 v8, 7, v4
	v_cmp_lt_i32_e32 vcc, 5, v8
	v_cmp_eq_u32_e64 s[0:1], 3, v8
	v_lshrrev_b32_e32 v4, 2, v4
	s_or_b64 vcc, s[0:1], vcc
	v_addc_co_u32_e32 v4, vcc, 0, v4, vcc
	v_cmp_gt_i32_e32 vcc, 31, v7
	v_cndmask_b32_e32 v4, v6, v4, vcc
	v_cmp_ne_u32_e32 vcc, 0, v3
	v_cndmask_b32_e64 v3, 0, 1, vcc
	v_lshl_or_b32 v3, v3, 9, v6
	v_cmp_eq_u32_e32 vcc, s16, v7
	v_cndmask_b32_e32 v3, v4, v3, vcc
	v_lshrrev_b32_e32 v4, 16, v5
	v_and_or_b32 v3, v4, s10, v3
	v_and_b32_e32 v2, 0xffff, v2
	v_lshl_or_b32 v2, v3, 16, v2
	v_mov_b32_e32 v3, s2
	v_add_co_u32_e32 v0, vcc, s3, v0
	v_addc_co_u32_e32 v1, vcc, v1, v3, vcc
	global_store_dword v[0:1], v2, off
.LBB0_23:
	s_endpgm
	.section	.rodata,"a",@progbits
	.p2align	6, 0x0
	.amdhsa_kernel bluestein_single_fwd_len455_dim1_half_op_CI_CI
		.amdhsa_group_segment_fixed_size 5460
		.amdhsa_private_segment_fixed_size 0
		.amdhsa_kernarg_size 104
		.amdhsa_user_sgpr_count 6
		.amdhsa_user_sgpr_private_segment_buffer 1
		.amdhsa_user_sgpr_dispatch_ptr 0
		.amdhsa_user_sgpr_queue_ptr 0
		.amdhsa_user_sgpr_kernarg_segment_ptr 1
		.amdhsa_user_sgpr_dispatch_id 0
		.amdhsa_user_sgpr_flat_scratch_init 0
		.amdhsa_user_sgpr_private_segment_size 0
		.amdhsa_uses_dynamic_stack 0
		.amdhsa_system_sgpr_private_segment_wavefront_offset 0
		.amdhsa_system_sgpr_workgroup_id_x 1
		.amdhsa_system_sgpr_workgroup_id_y 0
		.amdhsa_system_sgpr_workgroup_id_z 0
		.amdhsa_system_sgpr_workgroup_info 0
		.amdhsa_system_vgpr_workitem_id 0
		.amdhsa_next_free_vgpr 125
		.amdhsa_next_free_sgpr 30
		.amdhsa_reserve_vcc 1
		.amdhsa_reserve_flat_scratch 0
		.amdhsa_float_round_mode_32 0
		.amdhsa_float_round_mode_16_64 0
		.amdhsa_float_denorm_mode_32 3
		.amdhsa_float_denorm_mode_16_64 3
		.amdhsa_dx10_clamp 1
		.amdhsa_ieee_mode 1
		.amdhsa_fp16_overflow 0
		.amdhsa_exception_fp_ieee_invalid_op 0
		.amdhsa_exception_fp_denorm_src 0
		.amdhsa_exception_fp_ieee_div_zero 0
		.amdhsa_exception_fp_ieee_overflow 0
		.amdhsa_exception_fp_ieee_underflow 0
		.amdhsa_exception_fp_ieee_inexact 0
		.amdhsa_exception_int_div_zero 0
	.end_amdhsa_kernel
	.text
.Lfunc_end0:
	.size	bluestein_single_fwd_len455_dim1_half_op_CI_CI, .Lfunc_end0-bluestein_single_fwd_len455_dim1_half_op_CI_CI
                                        ; -- End function
	.section	.AMDGPU.csdata,"",@progbits
; Kernel info:
; codeLenInByte = 19988
; NumSgprs: 34
; NumVgprs: 125
; ScratchSize: 0
; MemoryBound: 0
; FloatMode: 240
; IeeeMode: 1
; LDSByteSize: 5460 bytes/workgroup (compile time only)
; SGPRBlocks: 4
; VGPRBlocks: 31
; NumSGPRsForWavesPerEU: 34
; NumVGPRsForWavesPerEU: 125
; Occupancy: 2
; WaveLimiterHint : 1
; COMPUTE_PGM_RSRC2:SCRATCH_EN: 0
; COMPUTE_PGM_RSRC2:USER_SGPR: 6
; COMPUTE_PGM_RSRC2:TRAP_HANDLER: 0
; COMPUTE_PGM_RSRC2:TGID_X_EN: 1
; COMPUTE_PGM_RSRC2:TGID_Y_EN: 0
; COMPUTE_PGM_RSRC2:TGID_Z_EN: 0
; COMPUTE_PGM_RSRC2:TIDIG_COMP_CNT: 0
	.type	__hip_cuid_def9fa4637c782,@object ; @__hip_cuid_def9fa4637c782
	.section	.bss,"aw",@nobits
	.globl	__hip_cuid_def9fa4637c782
__hip_cuid_def9fa4637c782:
	.byte	0                               ; 0x0
	.size	__hip_cuid_def9fa4637c782, 1

	.ident	"AMD clang version 19.0.0git (https://github.com/RadeonOpenCompute/llvm-project roc-6.4.0 25133 c7fe45cf4b819c5991fe208aaa96edf142730f1d)"
	.section	".note.GNU-stack","",@progbits
	.addrsig
	.addrsig_sym __hip_cuid_def9fa4637c782
	.amdgpu_metadata
---
amdhsa.kernels:
  - .args:
      - .actual_access:  read_only
        .address_space:  global
        .offset:         0
        .size:           8
        .value_kind:     global_buffer
      - .actual_access:  read_only
        .address_space:  global
        .offset:         8
        .size:           8
        .value_kind:     global_buffer
      - .actual_access:  read_only
        .address_space:  global
        .offset:         16
        .size:           8
        .value_kind:     global_buffer
      - .actual_access:  read_only
        .address_space:  global
        .offset:         24
        .size:           8
        .value_kind:     global_buffer
      - .actual_access:  read_only
        .address_space:  global
        .offset:         32
        .size:           8
        .value_kind:     global_buffer
      - .offset:         40
        .size:           8
        .value_kind:     by_value
      - .address_space:  global
        .offset:         48
        .size:           8
        .value_kind:     global_buffer
      - .address_space:  global
        .offset:         56
        .size:           8
        .value_kind:     global_buffer
      - .address_space:  global
        .offset:         64
        .size:           8
        .value_kind:     global_buffer
      - .address_space:  global
        .offset:         72
        .size:           8
        .value_kind:     global_buffer
      - .offset:         80
        .size:           4
        .value_kind:     by_value
      - .address_space:  global
        .offset:         88
        .size:           8
        .value_kind:     global_buffer
      - .address_space:  global
        .offset:         96
        .size:           8
        .value_kind:     global_buffer
    .group_segment_fixed_size: 5460
    .kernarg_segment_align: 8
    .kernarg_segment_size: 104
    .language:       OpenCL C
    .language_version:
      - 2
      - 0
    .max_flat_workgroup_size: 195
    .name:           bluestein_single_fwd_len455_dim1_half_op_CI_CI
    .private_segment_fixed_size: 0
    .sgpr_count:     34
    .sgpr_spill_count: 0
    .symbol:         bluestein_single_fwd_len455_dim1_half_op_CI_CI.kd
    .uniform_work_group_size: 1
    .uses_dynamic_stack: false
    .vgpr_count:     125
    .vgpr_spill_count: 0
    .wavefront_size: 64
amdhsa.target:   amdgcn-amd-amdhsa--gfx906
amdhsa.version:
  - 1
  - 2
...

	.end_amdgpu_metadata
